;; amdgpu-corpus repo=ROCm/rocFFT kind=compiled arch=gfx1030 opt=O3
	.text
	.amdgcn_target "amdgcn-amd-amdhsa--gfx1030"
	.amdhsa_code_object_version 6
	.protected	bluestein_single_back_len1694_dim1_dp_op_CI_CI ; -- Begin function bluestein_single_back_len1694_dim1_dp_op_CI_CI
	.globl	bluestein_single_back_len1694_dim1_dp_op_CI_CI
	.p2align	8
	.type	bluestein_single_back_len1694_dim1_dp_op_CI_CI,@function
bluestein_single_back_len1694_dim1_dp_op_CI_CI: ; @bluestein_single_back_len1694_dim1_dp_op_CI_CI
; %bb.0:
	s_load_dwordx4 s[12:15], s[4:5], 0x28
	v_mul_u32_u24_e32 v1, 0x1aa, v0
	s_mov_b64 s[42:43], s[2:3]
	s_mov_b64 s[40:41], s[0:1]
	v_mov_b32_e32 v15, 0
	s_add_u32 s40, s40, s7
	v_lshrrev_b32_e32 v1, 16, v1
	s_addc_u32 s41, s41, 0
	s_mov_b32 s0, exec_lo
	v_add_nc_u32_e32 v14, s6, v1
	s_waitcnt lgkmcnt(0)
	v_cmpx_gt_u64_e64 s[12:13], v[14:15]
	s_cbranch_execz .LBB0_18
; %bb.1:
	s_clause 0x1
	s_load_dwordx4 s[8:11], s[4:5], 0x18
	s_load_dwordx4 s[0:3], s[4:5], 0x0
	v_mul_lo_u16 v1, 0x9a, v1
	v_mov_b32_e32 v15, v14
	s_mov_b32 s28, 0xf8bb580b
	s_mov_b32 s29, 0xbfe14ced
	;; [unrolled: 1-line block ×3, first 2 shown]
	v_sub_nc_u16 v68, v0, v1
	s_mov_b32 s20, 0xbb3a28a1
	s_mov_b32 s22, 0xfd768dbf
	;; [unrolled: 1-line block ×4, first 2 shown]
	v_and_b32_e32 v249, 0xffff, v68
	s_mov_b32 s12, 0xd9c712b6
	s_mov_b32 s13, 0x3fda9628
	;; [unrolled: 1-line block ×4, first 2 shown]
	v_lshlrev_b32_e32 v250, 4, v249
	s_mov_b32 s35, 0x3fd207e7
	s_mov_b32 s31, 0x3fefac9e
	s_waitcnt lgkmcnt(0)
	s_load_dwordx4 s[16:19], s[8:9], 0x0
	s_mov_b32 s27, 0x3fe14ced
	v_add_co_u32 v225, s6, s0, v250
	v_add_co_ci_u32_e64 v226, null, s1, 0, s6
	global_load_dwordx4 v[17:20], v250, s[0:1]
	v_add_co_u32 v0, vcc_lo, 0x800, v225
	v_add_co_ci_u32_e32 v1, vcc_lo, 0, v226, vcc_lo
	v_add_co_u32 v2, vcc_lo, 0x1000, v225
	v_add_co_ci_u32_e32 v3, vcc_lo, 0, v226, vcc_lo
	;; [unrolled: 2-line block ×3, first 2 shown]
	v_add_co_u32 v8, vcc_lo, 0x2000, v225
	s_waitcnt lgkmcnt(0)
	v_mad_u64_u32 v[6:7], null, s18, v14, 0
	v_mad_u64_u32 v[12:13], null, s16, v249, 0
	buffer_store_dword v15, off, s[40:43], 0 ; 4-byte Folded Spill
	buffer_store_dword v16, off, s[40:43], 0 offset:4 ; 4-byte Folded Spill
	v_add_co_ci_u32_e32 v9, vcc_lo, 0, v226, vcc_lo
	v_add_co_u32 v10, vcc_lo, 0x3000, v225
	v_mad_u64_u32 v[14:15], null, s19, v14, v[7:8]
	v_mov_b32_e32 v7, v13
	v_add_co_ci_u32_e32 v11, vcc_lo, 0, v226, vcc_lo
	v_add_co_u32 v32, vcc_lo, 0x3800, v225
	v_mad_u64_u32 v[15:16], null, s17, v249, v[7:8]
	v_mov_b32_e32 v7, v14
	v_add_co_ci_u32_e32 v33, vcc_lo, 0, v226, vcc_lo
	v_add_co_u32 v34, vcc_lo, 0x4000, v225
	s_clause 0x1
	global_load_dwordx4 v[133:136], v[0:1], off offset:416
	global_load_dwordx4 v[129:132], v[2:3], off offset:832
	v_mov_b32_e32 v13, v15
	v_lshlrev_b64 v[0:1], 4, v[6:7]
	v_add_co_ci_u32_e32 v35, vcc_lo, 0, v226, vcc_lo
	v_add_co_u32 v36, vcc_lo, 0x4800, v225
	v_add_co_ci_u32_e32 v37, vcc_lo, 0, v226, vcc_lo
	v_lshlrev_b64 v[2:3], 4, v[12:13]
	v_add_co_u32 v0, vcc_lo, s14, v0
	v_add_co_ci_u32_e32 v1, vcc_lo, s15, v1, vcc_lo
	s_mul_i32 s0, s17, 0x9a0
	v_add_co_u32 v0, vcc_lo, v0, v2
	v_add_co_ci_u32_e32 v1, vcc_lo, v1, v3, vcc_lo
	s_mul_hi_u32 s1, s16, 0x9a0
	s_mul_i32 s6, s16, 0x9a0
	s_add_i32 s1, s1, s0
	v_add_co_u32 v2, vcc_lo, v0, s6
	v_add_co_ci_u32_e32 v3, vcc_lo, s1, v1, vcc_lo
	s_clause 0x1
	global_load_dwordx4 v[21:24], v[4:5], off offset:1248
	global_load_dwordx4 v[25:28], v[8:9], off offset:1664
	v_add_co_u32 v38, vcc_lo, v2, s6
	v_add_co_ci_u32_e32 v39, vcc_lo, s1, v3, vcc_lo
	s_clause 0x1
	global_load_dwordx4 v[12:15], v[10:11], off offset:32
	global_load_dwordx4 v[4:7], v[34:35], off offset:864
	v_add_co_u32 v40, vcc_lo, v38, s6
	v_add_co_ci_u32_e32 v41, vcc_lo, s1, v39, vcc_lo
	global_load_dwordx4 v[8:11], v[32:33], off offset:448
	v_add_co_u32 v32, vcc_lo, v40, s6
	v_add_co_ci_u32_e32 v33, vcc_lo, s1, v41, vcc_lo
	s_clause 0x1
	global_load_dwordx4 v[44:47], v[0:1], off
	global_load_dwordx4 v[48:51], v[2:3], off
	v_add_co_u32 v34, vcc_lo, v32, s6
	v_add_co_ci_u32_e32 v35, vcc_lo, s1, v33, vcc_lo
	s_clause 0x1
	global_load_dwordx4 v[52:55], v[38:39], off
	global_load_dwordx4 v[56:59], v[40:41], off
	v_add_co_u32 v0, vcc_lo, v34, s6
	v_add_co_ci_u32_e32 v1, vcc_lo, s1, v35, vcc_lo
	s_mov_b32 s16, 0x43842ef
	v_add_co_u32 v2, vcc_lo, v0, s6
	v_add_co_ci_u32_e32 v3, vcc_lo, s1, v1, vcc_lo
	s_mov_b32 s17, 0xbfefac9e
	v_add_co_u32 v38, vcc_lo, v2, s6
	v_add_co_ci_u32_e32 v39, vcc_lo, s1, v3, vcc_lo
	global_load_dwordx4 v[60:63], v[32:33], off
	global_load_dwordx4 v[64:67], v[34:35], off
	;; [unrolled: 1-line block ×5, first 2 shown]
	v_add_co_u32 v0, vcc_lo, v38, s6
	v_add_co_ci_u32_e32 v1, vcc_lo, s1, v39, vcc_lo
	v_add_co_u32 v2, vcc_lo, 0x5000, v225
	v_add_co_ci_u32_e32 v3, vcc_lo, 0, v226, vcc_lo
	;; [unrolled: 2-line block ×4, first 2 shown]
	global_load_dwordx4 v[29:32], v[36:37], off offset:1280
	global_load_dwordx4 v[81:84], v[0:1], off
	s_clause 0x1
	global_load_dwordx4 v[33:36], v[2:3], off offset:1696
	global_load_dwordx4 v[37:40], v[40:41], off offset:64
	global_load_dwordx4 v[85:88], v[85:86], off
	s_mov_b32 s6, 0x8eee2c13
	s_mov_b32 s0, 0x8764f0ba
	;; [unrolled: 1-line block ×10, first 2 shown]
	s_load_dwordx2 s[4:5], s[4:5], 0x38
	v_cmp_gt_u16_e32 vcc_lo, 0x4d, v68
	s_waitcnt vmcnt(13)
	v_mul_f64 v[0:1], v[46:47], v[19:20]
	s_waitcnt vmcnt(12)
	v_mul_f64 v[89:90], v[50:51], v[135:136]
	v_mul_f64 v[2:3], v[44:45], v[19:20]
	;; [unrolled: 1-line block ×3, first 2 shown]
	s_waitcnt vmcnt(11)
	v_mul_f64 v[93:94], v[54:55], v[131:132]
	s_waitcnt vmcnt(10)
	v_mul_f64 v[97:98], v[58:59], v[23:24]
	v_mul_f64 v[95:96], v[52:53], v[131:132]
	;; [unrolled: 1-line block ×3, first 2 shown]
	s_waitcnt vmcnt(9)
	v_mul_f64 v[101:102], v[62:63], v[27:28]
	s_waitcnt vmcnt(8)
	v_mul_f64 v[105:106], v[66:67], v[14:15]
	;; [unrolled: 2-line block ×4, first 2 shown]
	v_fma_f64 v[44:45], v[44:45], v[17:18], v[0:1]
	buffer_store_dword v17, off, s[40:43], 0 offset:8 ; 4-byte Folded Spill
	buffer_store_dword v18, off, s[40:43], 0 offset:12 ; 4-byte Folded Spill
	;; [unrolled: 1-line block ×4, first 2 shown]
	v_fma_f64 v[48:49], v[48:49], v[133:134], v[89:90]
	buffer_store_dword v133, off, s[40:43], 0 offset:120 ; 4-byte Folded Spill
	buffer_store_dword v134, off, s[40:43], 0 offset:124 ; 4-byte Folded Spill
	;; [unrolled: 1-line block ×4, first 2 shown]
	v_mul_f64 v[103:104], v[60:61], v[27:28]
	v_mul_f64 v[107:108], v[64:65], v[14:15]
	v_fma_f64 v[52:53], v[52:53], v[129:130], v[93:94]
	buffer_store_dword v129, off, s[40:43], 0 offset:104 ; 4-byte Folded Spill
	buffer_store_dword v130, off, s[40:43], 0 offset:108 ; 4-byte Folded Spill
	;; [unrolled: 1-line block ×4, first 2 shown]
	v_fma_f64 v[56:57], v[56:57], v[21:22], v[97:98]
	buffer_store_dword v21, off, s[40:43], 0 offset:72 ; 4-byte Folded Spill
	buffer_store_dword v22, off, s[40:43], 0 offset:76 ; 4-byte Folded Spill
	;; [unrolled: 1-line block ×4, first 2 shown]
	v_mul_f64 v[111:112], v[69:70], v[10:11]
	v_mul_f64 v[115:116], v[73:74], v[6:7]
	s_waitcnt vmcnt(4)
	v_mul_f64 v[117:118], v[79:80], v[31:32]
	v_mul_f64 v[119:120], v[77:78], v[31:32]
	s_waitcnt vmcnt(2)
	;; [unrolled: 3-line block ×3, first 2 shown]
	v_mul_f64 v[125:126], v[87:88], v[39:40]
	v_fma_f64 v[60:61], v[60:61], v[25:26], v[101:102]
	buffer_store_dword v25, off, s[40:43], 0 offset:88 ; 4-byte Folded Spill
	buffer_store_dword v26, off, s[40:43], 0 offset:92 ; 4-byte Folded Spill
	buffer_store_dword v27, off, s[40:43], 0 offset:96 ; 4-byte Folded Spill
	buffer_store_dword v28, off, s[40:43], 0 offset:100 ; 4-byte Folded Spill
	v_fma_f64 v[64:65], v[64:65], v[12:13], v[105:106]
	buffer_store_dword v12, off, s[40:43], 0 offset:56 ; 4-byte Folded Spill
	buffer_store_dword v13, off, s[40:43], 0 offset:60 ; 4-byte Folded Spill
	buffer_store_dword v14, off, s[40:43], 0 offset:64 ; 4-byte Folded Spill
	buffer_store_dword v15, off, s[40:43], 0 offset:68 ; 4-byte Folded Spill
	;; [unrolled: 5-line block ×4, first 2 shown]
	v_mul_f64 v[127:128], v[85:86], v[39:40]
	v_fma_f64 v[77:78], v[77:78], v[29:30], v[117:118]
	buffer_store_dword v29, off, s[40:43], 0 offset:136 ; 4-byte Folded Spill
	buffer_store_dword v30, off, s[40:43], 0 offset:140 ; 4-byte Folded Spill
	buffer_store_dword v31, off, s[40:43], 0 offset:144 ; 4-byte Folded Spill
	buffer_store_dword v32, off, s[40:43], 0 offset:148 ; 4-byte Folded Spill
	v_fma_f64 v[81:82], v[81:82], v[33:34], v[121:122]
	buffer_store_dword v33, off, s[40:43], 0 offset:152 ; 4-byte Folded Spill
	buffer_store_dword v34, off, s[40:43], 0 offset:156 ; 4-byte Folded Spill
	buffer_store_dword v35, off, s[40:43], 0 offset:160 ; 4-byte Folded Spill
	buffer_store_dword v36, off, s[40:43], 0 offset:164 ; 4-byte Folded Spill
	;; [unrolled: 5-line block ×3, first 2 shown]
	s_load_dwordx4 s[8:11], s[10:11], 0x0
	v_fma_f64 v[46:47], v[46:47], v[17:18], -v[2:3]
	v_fma_f64 v[50:51], v[50:51], v[133:134], -v[91:92]
	v_fma_f64 v[54:55], v[54:55], v[129:130], -v[95:96]
	v_fma_f64 v[58:59], v[58:59], v[21:22], -v[99:100]
	v_fma_f64 v[62:63], v[62:63], v[25:26], -v[103:104]
	v_fma_f64 v[66:67], v[66:67], v[12:13], -v[107:108]
	v_fma_f64 v[71:72], v[71:72], v[8:9], -v[111:112]
	v_fma_f64 v[75:76], v[75:76], v[4:5], -v[115:116]
	v_fma_f64 v[79:80], v[79:80], v[29:30], -v[119:120]
	v_fma_f64 v[83:84], v[83:84], v[33:34], -v[123:124]
	v_fma_f64 v[87:88], v[87:88], v[37:38], -v[127:128]
	ds_write_b128 v250, v[44:47]
	ds_write_b128 v250, v[48:51] offset:2464
	ds_write_b128 v250, v[52:55] offset:4928
	;; [unrolled: 1-line block ×10, first 2 shown]
	s_waitcnt lgkmcnt(0)
	s_waitcnt_vscnt null, 0x0
	s_barrier
	buffer_gl0_inv
	ds_read_b128 v[60:63], v250
	ds_read_b128 v[64:67], v250 offset:2464
	ds_read_b128 v[44:47], v250 offset:24640
	;; [unrolled: 1-line block ×10, first 2 shown]
	s_waitcnt lgkmcnt(0)
	s_barrier
	buffer_gl0_inv
	v_add_f64 v[0:1], v[60:61], v[64:65]
	v_add_f64 v[2:3], v[62:63], v[66:67]
	v_add_f64 v[89:90], v[66:67], -v[46:47]
	v_add_f64 v[91:92], v[64:65], -v[44:45]
	v_add_f64 v[64:65], v[64:65], v[44:45]
	v_add_f64 v[66:67], v[66:67], v[46:47]
	v_add_f64 v[93:94], v[69:70], v[48:49]
	v_add_f64 v[95:96], v[71:72], v[50:51]
	v_add_f64 v[97:98], v[69:70], -v[48:49]
	v_add_f64 v[99:100], v[71:72], -v[50:51]
	;; [unrolled: 1-line block ×7, first 2 shown]
	v_add_f64 v[101:102], v[73:74], v[52:53]
	v_add_f64 v[103:104], v[75:76], v[54:55]
	;; [unrolled: 1-line block ×5, first 2 shown]
	v_add_f64 v[121:122], v[85:86], -v[77:78]
	v_add_f64 v[119:120], v[87:88], v[79:80]
	v_add_f64 v[0:1], v[0:1], v[69:70]
	;; [unrolled: 1-line block ×3, first 2 shown]
	v_mul_f64 v[69:70], v[89:90], s[28:29]
	v_mul_f64 v[71:72], v[91:92], s[28:29]
	;; [unrolled: 1-line block ×12, first 2 shown]
	s_mov_b32 s7, 0x3fed1bb4
	v_mul_f64 v[141:142], v[99:100], s[20:21]
	v_mul_f64 v[143:144], v[97:98], s[20:21]
	;; [unrolled: 1-line block ×7, first 2 shown]
	v_add_f64 v[0:1], v[0:1], v[73:74]
	v_add_f64 v[2:3], v[2:3], v[75:76]
	v_fma_f64 v[73:74], v[64:65], s[0:1], -v[69:70]
	v_fma_f64 v[75:76], v[66:67], s[0:1], v[71:72]
	v_fma_f64 v[69:70], v[64:65], s[0:1], v[69:70]
	v_fma_f64 v[71:72], v[66:67], s[0:1], -v[71:72]
	v_fma_f64 v[193:194], v[64:65], s[12:13], -v[125:126]
	v_fma_f64 v[195:196], v[66:67], s[12:13], v[127:128]
	v_mul_f64 v[97:98], v[97:98], s[26:27]
	v_mul_f64 v[153:154], v[107:108], s[16:17]
	;; [unrolled: 1-line block ×14, first 2 shown]
	v_add_f64 v[0:1], v[0:1], v[81:82]
	v_add_f64 v[2:3], v[2:3], v[83:84]
	v_mul_f64 v[179:180], v[113:114], s[30:31]
	v_mul_f64 v[181:182], v[113:114], s[28:29]
	;; [unrolled: 1-line block ×12, first 2 shown]
	v_fma_f64 v[125:126], v[64:65], s[12:13], v[125:126]
	v_fma_f64 v[127:128], v[66:67], s[12:13], -v[127:128]
	v_fma_f64 v[197:198], v[64:65], s[14:15], -v[129:130]
	v_fma_f64 v[199:200], v[66:67], s[14:15], v[131:132]
	v_fma_f64 v[129:130], v[64:65], s[14:15], v[129:130]
	v_fma_f64 v[131:132], v[66:67], s[14:15], -v[131:132]
	v_fma_f64 v[201:202], v[64:65], s[18:19], -v[133:134]
	v_fma_f64 v[203:204], v[66:67], s[18:19], v[135:136]
	;; [unrolled: 4-line block ×3, first 2 shown]
	v_fma_f64 v[64:65], v[64:65], s[24:25], v[89:90]
	v_fma_f64 v[66:67], v[66:67], s[24:25], -v[91:92]
	v_add_f64 v[0:1], v[0:1], v[85:86]
	v_add_f64 v[2:3], v[2:3], v[87:88]
	v_fma_f64 v[89:90], v[93:94], s[12:13], -v[137:138]
	v_fma_f64 v[91:92], v[95:96], s[12:13], v[139:140]
	v_add_f64 v[73:74], v[60:61], v[73:74]
	v_add_f64 v[75:76], v[62:63], v[75:76]
	v_fma_f64 v[137:138], v[93:94], s[12:13], v[137:138]
	v_fma_f64 v[139:140], v[95:96], s[12:13], -v[139:140]
	v_fma_f64 v[209:210], v[93:94], s[18:19], -v[141:142]
	v_fma_f64 v[213:214], v[95:96], s[18:19], v[143:144]
	v_add_f64 v[69:70], v[60:61], v[69:70]
	v_add_f64 v[71:72], v[62:63], v[71:72]
	;; [unrolled: 1-line block ×4, first 2 shown]
	v_fma_f64 v[141:142], v[93:94], s[18:19], v[141:142]
	v_fma_f64 v[143:144], v[95:96], s[18:19], -v[143:144]
	v_fma_f64 v[215:216], v[93:94], s[24:25], -v[145:146]
	v_fma_f64 v[217:218], v[95:96], s[24:25], v[147:148]
	v_fma_f64 v[145:146], v[93:94], s[24:25], v[145:146]
	v_fma_f64 v[147:148], v[95:96], s[24:25], -v[147:148]
	v_fma_f64 v[219:220], v[93:94], s[14:15], -v[149:150]
	v_fma_f64 v[221:222], v[95:96], s[14:15], v[151:152]
	;; [unrolled: 4-line block ×4, first 2 shown]
	v_fma_f64 v[227:228], v[101:102], s[24:25], -v[155:156]
	v_fma_f64 v[155:156], v[101:102], s[24:25], v[155:156]
	v_fma_f64 v[81:82], v[101:102], s[0:1], -v[157:158]
	v_fma_f64 v[83:84], v[101:102], s[0:1], v[157:158]
	;; [unrolled: 2-line block ×3, first 2 shown]
	v_fma_f64 v[229:230], v[103:104], s[14:15], v[161:162]
	v_fma_f64 v[161:162], v[103:104], s[14:15], -v[161:162]
	v_fma_f64 v[231:232], v[103:104], s[24:25], v[163:164]
	v_fma_f64 v[163:164], v[103:104], s[24:25], -v[163:164]
	;; [unrolled: 2-line block ×4, first 2 shown]
	v_fma_f64 v[237:238], v[109:110], s[18:19], -v[169:170]
	v_fma_f64 v[169:170], v[109:110], s[18:19], v[169:170]
	v_fma_f64 v[239:240], v[109:110], s[14:15], -v[171:172]
	v_fma_f64 v[171:172], v[109:110], s[14:15], v[171:172]
	;; [unrolled: 2-line block ×4, first 2 shown]
	v_fma_f64 v[85:86], v[111:112], s[18:19], v[177:178]
	v_fma_f64 v[87:88], v[111:112], s[18:19], -v[177:178]
	v_fma_f64 v[177:178], v[111:112], s[14:15], v[179:180]
	v_fma_f64 v[179:180], v[111:112], s[14:15], -v[179:180]
	v_add_f64 v[125:126], v[60:61], v[125:126]
	v_add_f64 v[127:128], v[62:63], v[127:128]
	;; [unrolled: 1-line block ×14, first 2 shown]
	v_fma_f64 v[64:65], v[111:112], s[0:1], v[181:182]
	v_fma_f64 v[66:67], v[111:112], s[0:1], -v[181:182]
	v_fma_f64 v[181:182], v[111:112], s[24:25], v[183:184]
	v_fma_f64 v[183:184], v[111:112], s[24:25], -v[183:184]
	v_add_f64 v[0:1], v[0:1], v[77:78]
	v_add_f64 v[2:3], v[2:3], v[79:80]
	v_fma_f64 v[77:78], v[117:118], s[24:25], -v[185:186]
	v_fma_f64 v[79:80], v[117:118], s[24:25], v[185:186]
	v_fma_f64 v[185:186], v[101:102], s[12:13], -v[107:108]
	v_fma_f64 v[101:102], v[101:102], s[12:13], v[107:108]
	v_fma_f64 v[107:108], v[103:104], s[12:13], v[105:106]
	v_fma_f64 v[103:104], v[103:104], s[12:13], -v[105:106]
	v_fma_f64 v[105:106], v[109:110], s[12:13], -v[115:116]
	v_fma_f64 v[109:110], v[109:110], s[12:13], v[115:116]
	v_fma_f64 v[115:116], v[111:112], s[12:13], v[113:114]
	v_fma_f64 v[111:112], v[111:112], s[12:13], -v[113:114]
	v_fma_f64 v[113:114], v[117:118], s[0:1], -v[187:188]
	v_fma_f64 v[187:188], v[117:118], s[0:1], v[187:188]
	v_fma_f64 v[245:246], v[117:118], s[18:19], -v[189:190]
	v_fma_f64 v[189:190], v[117:118], s[18:19], v[189:190]
	;; [unrolled: 2-line block ×4, first 2 shown]
	v_mul_f64 v[123:124], v[121:122], s[22:23]
	v_mul_f64 v[253:254], v[121:122], s[26:27]
	;; [unrolled: 1-line block ×5, first 2 shown]
	v_add_f64 v[73:74], v[89:90], v[73:74]
	v_add_f64 v[75:76], v[91:92], v[75:76]
	;; [unrolled: 1-line block ×17, first 2 shown]
	v_fma_f64 v[121:122], v[119:120], s[24:25], v[123:124]
	v_fma_f64 v[123:124], v[119:120], s[24:25], -v[123:124]
	v_fma_f64 v[8:9], v[119:120], s[0:1], v[253:254]
	v_fma_f64 v[10:11], v[119:120], s[0:1], -v[253:254]
	;; [unrolled: 2-line block ×5, first 2 shown]
	v_add_f64 v[119:120], v[141:142], v[125:126]
	v_add_f64 v[125:126], v[215:216], v[197:198]
	;; [unrolled: 1-line block ×56, first 2 shown]
	v_mov_b32_e32 v116, 4
	v_add_f64 v[77:78], v[117:118], v[83:84]
	v_add_f64 v[83:84], v[12:13], v[97:98]
	;; [unrolled: 1-line block ×15, first 2 shown]
	v_mul_lo_u16 v0, v68, 11
	v_lshlrev_b32_sdwa v251, v116, v0 dst_sel:DWORD dst_unused:UNUSED_PAD src0_sel:DWORD src1_sel:WORD_0
	ds_write_b128 v251, v[52:55] offset:16
	ds_write_b128 v251, v[56:59] offset:32
	ds_write_b128 v251, v[64:67] offset:48
	ds_write_b128 v251, v[73:76] offset:64
	ds_write_b128 v251, v[81:84] offset:80
	ds_write_b128 v251, v[85:88] offset:96
	ds_write_b128 v251, v[77:80] offset:112
	ds_write_b128 v251, v[69:72] offset:128
	ds_write_b128 v251, v[60:63] offset:144
	ds_write_b128 v251, v[48:51] offset:160
	ds_write_b128 v251, v[44:47]
	s_waitcnt lgkmcnt(0)
	s_barrier
	buffer_gl0_inv
	ds_read_b128 v[44:47], v250
	ds_read_b128 v[52:55], v250 offset:2464
	ds_read_b128 v[72:75], v250 offset:16016
	;; [unrolled: 1-line block ×9, first 2 shown]
                                        ; implicit-def: $vgpr68_vgpr69
	s_and_saveexec_b32 s0, vcc_lo
	s_cbranch_execz .LBB0_3
; %bb.2:
	ds_read_b128 v[48:51], v250 offset:12320
	ds_read_b128 v[68:71], v250 offset:25872
.LBB0_3:
	s_or_b32 exec_lo, exec_lo, s0
	v_and_b32_e32 v0, 0xff, v249
	v_add_co_u32 v227, null, 0x9a, v249
	v_mov_b32_e32 v2, 0xba2f
	v_add_co_u32 v3, null, 0x1ce, v249
	v_mul_lo_u16 v0, 0x75, v0
	v_add_nc_u16 v5, v249, 0x302
	v_mul_u32_u24_sdwa v4, v227, v2 dst_sel:DWORD dst_unused:UNUSED_PAD src0_sel:WORD_0 src1_sel:DWORD
	v_mul_u32_u24_sdwa v8, v3, v2 dst_sel:DWORD dst_unused:UNUSED_PAD src0_sel:WORD_0 src1_sel:DWORD
	v_lshrrev_b16 v0, 8, v0
	v_lshrrev_b32_e32 v17, 19, v4
	v_lshrrev_b32_e32 v19, 19, v8
	v_sub_nc_u16 v1, v249, v0
	v_lshrrev_b16 v1, 1, v1
	v_and_b32_e32 v1, 0x7f, v1
	v_add_nc_u16 v0, v1, v0
	v_add_co_u32 v1, null, 0x134, v249
	v_lshrrev_b16 v16, 3, v0
	v_add_co_u32 v0, null, 0x268, v249
	v_mul_u32_u24_sdwa v6, v1, v2 dst_sel:DWORD dst_unused:UNUSED_PAD src0_sel:WORD_0 src1_sel:DWORD
	v_mul_lo_u16 v7, v16, 11
	v_mul_u32_u24_sdwa v4, v0, v2 dst_sel:DWORD dst_unused:UNUSED_PAD src0_sel:WORD_0 src1_sel:DWORD
	v_lshrrev_b32_e32 v18, 19, v6
	v_sub_nc_u16 v6, v249, v7
	v_mul_lo_u16 v7, v17, 11
	v_lshrrev_b32_e32 v20, 19, v4
	v_mul_lo_u16 v4, v18, 11
	v_and_b32_e32 v21, 0xff, v6
	v_mul_lo_u16 v6, v19, 11
	v_sub_nc_u16 v22, v227, v7
	v_mul_lo_u16 v7, v20, 11
	v_sub_nc_u16 v23, v1, v4
	v_lshlrev_b32_e32 v1, 4, v21
	v_sub_nc_u16 v24, v3, v6
	v_lshlrev_b32_sdwa v3, v116, v22 dst_sel:DWORD dst_unused:UNUSED_PAD src0_sel:DWORD src1_sel:WORD_0
	v_sub_nc_u16 v25, v0, v7
	v_lshlrev_b32_sdwa v0, v116, v23 dst_sel:DWORD dst_unused:UNUSED_PAD src0_sel:DWORD src1_sel:WORD_0
	s_clause 0x1
	global_load_dwordx4 v[96:99], v1, s[2:3]
	global_load_dwordx4 v[100:103], v3, s[2:3]
	v_lshlrev_b32_sdwa v1, v116, v24 dst_sel:DWORD dst_unused:UNUSED_PAD src0_sel:DWORD src1_sel:WORD_0
	v_lshlrev_b32_sdwa v3, v116, v25 dst_sel:DWORD dst_unused:UNUSED_PAD src0_sel:DWORD src1_sel:WORD_0
	s_clause 0x1
	global_load_dwordx4 v[104:107], v0, s[2:3]
	global_load_dwordx4 v[88:91], v1, s[2:3]
	v_mul_u32_u24_sdwa v0, v5, v2 dst_sel:DWORD dst_unused:UNUSED_PAD src0_sel:WORD_0 src1_sel:DWORD
	global_load_dwordx4 v[92:95], v3, s[2:3]
	v_lshrrev_b32_e32 v0, 19, v0
	buffer_store_dword v0, off, s[40:43], 0 offset:184 ; 4-byte Folded Spill
	v_mul_lo_u16 v0, v0, 11
	v_sub_nc_u16 v253, v5, v0
	v_lshlrev_b32_sdwa v0, v116, v253 dst_sel:DWORD dst_unused:UNUSED_PAD src0_sel:DWORD src1_sel:WORD_0
	global_load_dwordx4 v[84:87], v0, s[2:3]
	s_waitcnt vmcnt(0) lgkmcnt(0)
	s_waitcnt_vscnt null, 0x0
	s_barrier
	buffer_gl0_inv
	v_mul_f64 v[0:1], v[114:115], v[98:99]
	v_mul_f64 v[2:3], v[112:113], v[98:99]
	;; [unrolled: 1-line block ×10, first 2 shown]
	v_fma_f64 v[0:1], v[112:113], v[96:97], -v[0:1]
	v_fma_f64 v[2:3], v[114:115], v[96:97], v[2:3]
	v_fma_f64 v[4:5], v[72:73], v[100:101], -v[4:5]
	v_fma_f64 v[6:7], v[74:75], v[100:101], v[6:7]
	;; [unrolled: 2-line block ×3, first 2 shown]
	v_fma_f64 v[12:13], v[108:109], v[88:89], -v[12:13]
	v_fma_f64 v[112:113], v[80:81], v[92:93], -v[117:118]
	v_fma_f64 v[114:115], v[82:83], v[92:93], v[119:120]
	v_fma_f64 v[14:15], v[110:111], v[88:89], v[14:15]
	v_mul_f64 v[117:118], v[70:71], v[86:87]
	v_mul_f64 v[119:120], v[68:69], v[86:87]
	v_add_f64 v[72:73], v[44:45], -v[0:1]
	v_add_f64 v[74:75], v[46:47], -v[2:3]
	;; [unrolled: 1-line block ×4, first 2 shown]
	v_mov_b32_e32 v4, 22
	v_mad_u16 v5, v17, 22, v22
	v_add_f64 v[80:81], v[60:61], -v[8:9]
	v_add_f64 v[82:83], v[62:63], -v[10:11]
	v_add_f64 v[108:109], v[56:57], -v[12:13]
	v_add_f64 v[112:113], v[64:65], -v[112:113]
	v_add_f64 v[114:115], v[66:67], -v[114:115]
	v_add_f64 v[110:111], v[58:59], -v[14:15]
	v_fma_f64 v[0:1], v[68:69], v[84:85], -v[117:118]
	v_fma_f64 v[2:3], v[70:71], v[84:85], v[119:120]
	v_mad_u16 v6, v18, 22, v23
	v_lshlrev_b32_sdwa v5, v116, v5 dst_sel:DWORD dst_unused:UNUSED_PAD src0_sel:DWORD src1_sel:WORD_0
	v_fma_f64 v[44:45], v[44:45], 2.0, -v[72:73]
	v_fma_f64 v[46:47], v[46:47], 2.0, -v[74:75]
	;; [unrolled: 1-line block ×10, first 2 shown]
	v_add_f64 v[124:125], v[48:49], -v[0:1]
	v_add_f64 v[126:127], v[50:51], -v[2:3]
	v_mad_u16 v0, v19, 22, v24
	v_mul_u32_u24_sdwa v1, v16, v4 dst_sel:DWORD dst_unused:UNUSED_PAD src0_sel:WORD_0 src1_sel:DWORD
	v_mad_u16 v2, v20, 22, v25
	v_lshlrev_b32_sdwa v4, v116, v6 dst_sel:DWORD dst_unused:UNUSED_PAD src0_sel:DWORD src1_sel:WORD_0
	v_lshlrev_b32_sdwa v3, v116, v0 dst_sel:DWORD dst_unused:UNUSED_PAD src0_sel:DWORD src1_sel:WORD_0
	v_add_lshl_u32 v1, v1, v21, 4
	v_lshlrev_b32_sdwa v0, v116, v2 dst_sel:DWORD dst_unused:UNUSED_PAD src0_sel:DWORD src1_sel:WORD_0
	ds_write_b128 v1, v[72:75] offset:176
	buffer_store_dword v1, off, s[40:43], 0 offset:204 ; 4-byte Folded Spill
	ds_write_b128 v1, v[44:47]
	ds_write_b128 v5, v[52:55]
	buffer_store_dword v5, off, s[40:43], 0 offset:200 ; 4-byte Folded Spill
	ds_write_b128 v5, v[76:79] offset:176
	ds_write_b128 v4, v[60:63]
	buffer_store_dword v4, off, s[40:43], 0 offset:196 ; 4-byte Folded Spill
	ds_write_b128 v4, v[80:83] offset:176
	;; [unrolled: 3-line block ×4, first 2 shown]
	s_and_saveexec_b32 s0, vcc_lo
	s_cbranch_execz .LBB0_5
; %bb.4:
	buffer_load_dword v0, off, s[40:43], 0 offset:184 ; 4-byte Folded Reload
	v_fma_f64 v[46:47], v[50:51], 2.0, -v[126:127]
	v_fma_f64 v[44:45], v[48:49], 2.0, -v[124:125]
	v_mov_b32_e32 v1, 4
	s_waitcnt vmcnt(0)
	v_mad_u16 v0, v0, 22, v253
	v_lshlrev_b32_sdwa v0, v1, v0 dst_sel:DWORD dst_unused:UNUSED_PAD src0_sel:DWORD src1_sel:WORD_0
	ds_write_b128 v0, v[44:47]
	ds_write_b128 v0, v[124:127] offset:176
.LBB0_5:
	s_or_b32 exec_lo, exec_lo, s0
	v_lshrrev_b16 v0, 1, v249
	s_waitcnt lgkmcnt(0)
	s_waitcnt_vscnt null, 0x0
	s_barrier
	buffer_gl0_inv
	s_mov_b32 s20, 0xf8bb580b
	v_and_b32_e32 v0, 0x7f, v0
	s_mov_b32 s14, 0x43842ef
	s_mov_b32 s22, 0xbb3a28a1
	s_mov_b32 s26, 0xfd768dbf
	s_mov_b32 s21, 0xbfe14ced
	v_mul_lo_u16 v0, 0xbb, v0
	s_mov_b32 s19, 0xbfed1bb4
	s_mov_b32 s18, 0x8eee2c13
	;; [unrolled: 1-line block ×4, first 2 shown]
	v_lshrrev_b16 v228, 11, v0
	s_mov_b32 s27, 0xbfd207e7
	s_mov_b32 s0, 0x8764f0ba
	;; [unrolled: 1-line block ×4, first 2 shown]
	v_mul_lo_u16 v0, v228, 22
	s_mov_b32 s1, 0x3feaeb8c
	s_mov_b32 s7, 0xbfc2375f
	;; [unrolled: 1-line block ×4, first 2 shown]
	v_sub_nc_u16 v0, v249, v0
	s_mov_b32 s30, s14
	s_mov_b32 s29, 0x3fe14ced
	s_mov_b32 s28, s20
	v_and_b32_e32 v229, 0xff, v0
	v_mad_u64_u32 v[0:1], null, 0xa0, v229, s[2:3]
	s_clause 0x7
	global_load_dwordx4 v[64:67], v[0:1], off offset:176
	global_load_dwordx4 v[60:63], v[0:1], off offset:192
	;; [unrolled: 1-line block ×8, first 2 shown]
	ds_read_b128 v[76:79], v250 offset:2464
	ds_read_b128 v[80:83], v250 offset:4928
	;; [unrolled: 1-line block ×5, first 2 shown]
	ds_read_b128 v[184:187], v250
	s_waitcnt vmcnt(7) lgkmcnt(5)
	v_mul_f64 v[2:3], v[78:79], v[66:67]
	v_mul_f64 v[4:5], v[76:77], v[66:67]
	s_waitcnt vmcnt(6) lgkmcnt(4)
	v_mul_f64 v[6:7], v[82:83], v[62:63]
	v_mul_f64 v[8:9], v[80:81], v[62:63]
	s_waitcnt vmcnt(5) lgkmcnt(3)
	v_mul_f64 v[10:11], v[114:115], v[50:51]
	v_mul_f64 v[12:13], v[112:113], v[50:51]
	s_waitcnt vmcnt(4) lgkmcnt(1)
	v_mul_f64 v[14:15], v[118:119], v[46:47]
	v_mul_f64 v[128:129], v[116:117], v[46:47]
	v_fma_f64 v[108:109], v[76:77], v[64:65], -v[2:3]
	v_fma_f64 v[110:111], v[78:79], v[64:65], v[4:5]
	ds_read_b128 v[76:79], v250 offset:14784
	v_fma_f64 v[136:137], v[80:81], v[60:61], -v[6:7]
	v_fma_f64 v[138:139], v[82:83], v[60:61], v[8:9]
	s_waitcnt vmcnt(3)
	v_mul_f64 v[2:3], v[122:123], v[58:59]
	ds_read_b128 v[80:83], v250 offset:17248
	v_fma_f64 v[140:141], v[112:113], v[48:49], -v[10:11]
	v_fma_f64 v[142:143], v[114:115], v[48:49], v[12:13]
	v_mul_f64 v[4:5], v[120:121], v[58:59]
	v_fma_f64 v[144:145], v[116:117], v[44:45], -v[14:15]
	v_fma_f64 v[146:147], v[118:119], v[44:45], v[128:129]
	ds_read_b128 v[112:115], v250 offset:24640
	s_waitcnt vmcnt(2) lgkmcnt(2)
	v_mul_f64 v[6:7], v[78:79], v[54:55]
	v_mul_f64 v[8:9], v[76:77], v[54:55]
	v_add_f64 v[180:181], v[184:185], v[108:109]
	v_add_f64 v[182:183], v[186:187], v[110:111]
	v_fma_f64 v[148:149], v[120:121], v[56:57], -v[2:3]
	v_fma_f64 v[150:151], v[122:123], v[56:57], v[4:5]
	v_fma_f64 v[152:153], v[76:77], v[52:53], -v[6:7]
	v_fma_f64 v[154:155], v[78:79], v[52:53], v[8:9]
	ds_read_b128 v[76:79], v250 offset:19712
	s_waitcnt vmcnt(1) lgkmcnt(2)
	v_mul_f64 v[2:3], v[80:81], v[70:71]
	v_mul_f64 v[10:11], v[82:83], v[70:71]
	v_add_f64 v[217:218], v[148:149], v[152:153]
	v_add_f64 v[219:220], v[150:151], v[154:155]
	v_fma_f64 v[166:167], v[82:83], v[68:69], v[2:3]
	s_waitcnt vmcnt(0) lgkmcnt(0)
	v_mul_f64 v[2:3], v[78:79], v[74:75]
	v_fma_f64 v[164:165], v[80:81], v[68:69], -v[10:11]
	ds_read_b128 v[80:83], v250 offset:22176
	v_add_f64 v[221:222], v[146:147], -v[166:167]
	v_fma_f64 v[168:169], v[76:77], v[72:73], -v[2:3]
	v_mul_f64 v[2:3], v[76:77], v[74:75]
	v_add_f64 v[204:205], v[144:145], v[164:165]
	v_add_f64 v[223:224], v[144:145], -v[164:165]
	v_add_f64 v[206:207], v[146:147], v[166:167]
	v_add_f64 v[200:201], v[140:141], v[168:169]
	v_fma_f64 v[170:171], v[78:79], v[72:73], v[2:3]
	global_load_dwordx4 v[76:79], v[0:1], off offset:304
	v_add_f64 v[210:211], v[140:141], -v[168:169]
	v_add_f64 v[208:209], v[142:143], -v[170:171]
	v_add_f64 v[202:203], v[142:143], v[170:171]
	s_waitcnt vmcnt(0) lgkmcnt(0)
	v_mul_f64 v[2:3], v[82:83], v[78:79]
	v_fma_f64 v[172:173], v[80:81], v[76:77], -v[2:3]
	v_mul_f64 v[2:3], v[80:81], v[78:79]
	v_add_f64 v[198:199], v[136:137], -v[172:173]
	v_fma_f64 v[174:175], v[82:83], v[76:77], v[2:3]
	global_load_dwordx4 v[80:83], v[0:1], off offset:320
	s_waitcnt vmcnt(0)
	s_barrier
	buffer_gl0_inv
	v_mul_f64 v[215:216], v[198:199], s[18:19]
	v_mul_f64 v[0:1], v[112:113], v[82:83]
	v_fma_f64 v[176:177], v[114:115], v[80:81], v[0:1]
	v_mul_f64 v[0:1], v[114:115], v[82:83]
	v_add_f64 v[122:123], v[110:111], v[176:177]
	v_fma_f64 v[178:179], v[112:113], v[80:81], -v[0:1]
	v_add_f64 v[0:1], v[110:111], -v[176:177]
	v_add_f64 v[10:11], v[108:109], v[178:179]
	v_mul_f64 v[2:3], v[0:1], s[20:21]
	v_mul_f64 v[4:5], v[0:1], s[18:19]
	;; [unrolled: 1-line block ×5, first 2 shown]
	v_fma_f64 v[12:13], v[10:11], s[0:1], -v[2:3]
	v_fma_f64 v[2:3], v[10:11], s[0:1], v[2:3]
	v_fma_f64 v[14:15], v[10:11], s[12:13], -v[4:5]
	v_fma_f64 v[4:5], v[10:11], s[12:13], v[4:5]
	;; [unrolled: 2-line block ×5, first 2 shown]
	v_add_f64 v[10:11], v[108:109], -v[178:179]
	v_add_f64 v[12:13], v[184:185], v[12:13]
	v_add_f64 v[130:131], v[184:185], v[2:3]
	;; [unrolled: 1-line block ×3, first 2 shown]
	v_mul_f64 v[4:5], v[208:209], s[14:15]
	v_mul_f64 v[112:113], v[10:11], s[20:21]
	;; [unrolled: 1-line block ×6, first 2 shown]
	v_fma_f64 v[128:129], v[122:123], s[0:1], v[112:113]
	v_fma_f64 v[112:113], v[122:123], s[0:1], -v[112:113]
	v_fma_f64 v[134:135], v[122:123], s[12:13], v[114:115]
	v_fma_f64 v[192:193], v[122:123], s[16:17], v[120:121]
	;; [unrolled: 1-line block ×3, first 2 shown]
	v_fma_f64 v[156:157], v[122:123], s[12:13], -v[114:115]
	v_fma_f64 v[194:195], v[122:123], s[16:17], -v[120:121]
	v_fma_f64 v[158:159], v[122:123], s[6:7], v[118:119]
	v_fma_f64 v[190:191], v[122:123], s[6:7], -v[118:119]
	v_fma_f64 v[10:11], v[122:123], s[24:25], -v[10:11]
	v_add_f64 v[114:115], v[184:185], v[14:15]
	v_add_f64 v[122:123], v[184:185], v[116:117]
	;; [unrolled: 1-line block ×3, first 2 shown]
	v_fma_f64 v[6:7], v[200:201], s[6:7], -v[4:5]
	v_fma_f64 v[4:5], v[200:201], s[6:7], v[4:5]
	v_add_f64 v[108:109], v[186:187], v[128:129]
	v_add_f64 v[128:129], v[186:187], v[112:113]
	;; [unrolled: 1-line block ×6, first 2 shown]
	v_add_f64 v[196:197], v[138:139], -v[174:175]
	v_add_f64 v[160:161], v[186:187], v[156:157]
	v_add_f64 v[156:157], v[186:187], v[194:195]
	;; [unrolled: 1-line block ×10, first 2 shown]
	v_mul_f64 v[213:214], v[196:197], s[18:19]
	s_mov_b32 s19, 0x3fed1bb4
	v_fma_f64 v[2:3], v[190:191], s[12:13], v[215:216]
	v_fma_f64 v[0:1], v[188:189], s[12:13], -v[213:214]
	v_add_f64 v[2:3], v[2:3], v[108:109]
	v_add_f64 v[0:1], v[0:1], v[12:13]
	;; [unrolled: 1-line block ×3, first 2 shown]
	v_mul_f64 v[6:7], v[210:211], s[14:15]
	v_fma_f64 v[8:9], v[202:203], s[6:7], v[6:7]
	v_add_f64 v[2:3], v[8:9], v[2:3]
	v_mul_f64 v[8:9], v[221:222], s[22:23]
	v_fma_f64 v[10:11], v[204:205], s[16:17], -v[8:9]
	v_add_f64 v[0:1], v[10:11], v[0:1]
	v_mul_f64 v[10:11], v[223:224], s[22:23]
	v_fma_f64 v[12:13], v[206:207], s[16:17], v[10:11]
	v_add_f64 v[2:3], v[12:13], v[2:3]
	v_add_f64 v[12:13], v[150:151], -v[154:155]
	v_mul_f64 v[14:15], v[12:13], s[26:27]
	v_fma_f64 v[108:109], v[217:218], s[24:25], -v[14:15]
	v_add_f64 v[108:109], v[108:109], v[0:1]
	v_add_f64 v[0:1], v[148:149], -v[152:153]
	v_mul_f64 v[230:231], v[0:1], s[26:27]
	v_fma_f64 v[110:111], v[219:220], s[24:25], v[230:231]
	v_add_f64 v[110:111], v[110:111], v[2:3]
	v_fma_f64 v[2:3], v[188:189], s[12:13], v[213:214]
	v_mul_f64 v[212:213], v[221:222], s[30:31]
	v_add_f64 v[2:3], v[2:3], v[130:131]
	v_fma_f64 v[130:131], v[190:191], s[12:13], -v[215:216]
	v_mul_f64 v[214:215], v[223:224], s[30:31]
	v_add_f64 v[2:3], v[4:5], v[2:3]
	v_add_f64 v[128:129], v[130:131], v[128:129]
	v_fma_f64 v[4:5], v[202:203], s[6:7], -v[6:7]
	v_fma_f64 v[6:7], v[204:205], s[16:17], v[8:9]
	v_fma_f64 v[8:9], v[219:220], s[24:25], -v[230:231]
	v_mul_f64 v[230:231], v[12:13], s[28:29]
	v_add_f64 v[4:5], v[4:5], v[128:129]
	v_add_f64 v[2:3], v[6:7], v[2:3]
	v_fma_f64 v[6:7], v[206:207], s[16:17], -v[10:11]
	v_mul_f64 v[10:11], v[208:209], s[34:35]
	v_add_f64 v[4:5], v[6:7], v[4:5]
	v_fma_f64 v[6:7], v[217:218], s[24:25], v[14:15]
	v_fma_f64 v[14:15], v[200:201], s[24:25], -v[10:11]
	v_add_f64 v[130:131], v[8:9], v[4:5]
	v_add_f64 v[128:129], v[6:7], v[2:3]
	v_mul_f64 v[2:3], v[196:197], s[22:23]
	v_mul_f64 v[6:7], v[198:199], s[22:23]
	v_fma_f64 v[4:5], v[188:189], s[16:17], -v[2:3]
	v_fma_f64 v[8:9], v[190:191], s[16:17], v[6:7]
	v_fma_f64 v[2:3], v[188:189], s[16:17], v[2:3]
	v_fma_f64 v[6:7], v[190:191], s[16:17], -v[6:7]
	v_add_f64 v[4:5], v[4:5], v[114:115]
	v_add_f64 v[8:9], v[8:9], v[112:113]
	;; [unrolled: 1-line block ×5, first 2 shown]
	v_mul_f64 v[14:15], v[210:211], s[34:35]
	v_fma_f64 v[112:113], v[202:203], s[24:25], v[14:15]
	v_add_f64 v[8:9], v[112:113], v[8:9]
	v_fma_f64 v[112:113], v[204:205], s[6:7], -v[212:213]
	v_add_f64 v[4:5], v[112:113], v[4:5]
	v_fma_f64 v[112:113], v[206:207], s[6:7], v[214:215]
	v_add_f64 v[8:9], v[112:113], v[8:9]
	v_fma_f64 v[112:113], v[217:218], s[0:1], -v[230:231]
	v_add_f64 v[112:113], v[112:113], v[4:5]
	v_mul_f64 v[4:5], v[0:1], s[28:29]
	v_fma_f64 v[114:115], v[219:220], s[0:1], v[4:5]
	v_fma_f64 v[4:5], v[219:220], s[0:1], -v[4:5]
	v_add_f64 v[114:115], v[114:115], v[8:9]
	v_fma_f64 v[8:9], v[200:201], s[24:25], v[10:11]
	v_mul_f64 v[10:11], v[208:209], s[18:19]
	v_add_f64 v[2:3], v[8:9], v[2:3]
	v_fma_f64 v[8:9], v[202:203], s[24:25], -v[14:15]
	v_fma_f64 v[14:15], v[200:201], s[12:13], -v[10:11]
	v_add_f64 v[6:7], v[8:9], v[6:7]
	v_fma_f64 v[8:9], v[204:205], s[6:7], v[212:213]
	v_mul_f64 v[212:213], v[221:222], s[20:21]
	v_add_f64 v[2:3], v[8:9], v[2:3]
	v_fma_f64 v[8:9], v[206:207], s[6:7], -v[214:215]
	v_mul_f64 v[214:215], v[223:224], s[20:21]
	v_add_f64 v[6:7], v[8:9], v[6:7]
	v_fma_f64 v[8:9], v[217:218], s[0:1], v[230:231]
	v_mul_f64 v[230:231], v[12:13], s[22:23]
	v_add_f64 v[162:163], v[4:5], v[6:7]
	v_add_f64 v[160:161], v[8:9], v[2:3]
	v_mul_f64 v[2:3], v[196:197], s[34:35]
	v_mul_f64 v[6:7], v[198:199], s[34:35]
	v_fma_f64 v[4:5], v[188:189], s[24:25], -v[2:3]
	v_fma_f64 v[8:9], v[190:191], s[24:25], v[6:7]
	v_fma_f64 v[2:3], v[188:189], s[24:25], v[2:3]
	v_fma_f64 v[6:7], v[190:191], s[24:25], -v[6:7]
	v_add_f64 v[4:5], v[4:5], v[122:123]
	v_add_f64 v[8:9], v[8:9], v[120:121]
	;; [unrolled: 1-line block ×5, first 2 shown]
	v_mul_f64 v[14:15], v[210:211], s[18:19]
	v_fma_f64 v[120:121], v[202:203], s[12:13], v[14:15]
	v_add_f64 v[8:9], v[120:121], v[8:9]
	v_fma_f64 v[120:121], v[204:205], s[0:1], -v[212:213]
	v_add_f64 v[4:5], v[120:121], v[4:5]
	v_fma_f64 v[120:121], v[206:207], s[0:1], v[214:215]
	v_add_f64 v[8:9], v[120:121], v[8:9]
	v_fma_f64 v[120:121], v[217:218], s[16:17], -v[230:231]
	v_add_f64 v[120:121], v[120:121], v[4:5]
	v_mul_f64 v[4:5], v[0:1], s[22:23]
	v_fma_f64 v[122:123], v[219:220], s[16:17], v[4:5]
	v_fma_f64 v[4:5], v[219:220], s[16:17], -v[4:5]
	v_add_f64 v[122:123], v[122:123], v[8:9]
	v_fma_f64 v[8:9], v[200:201], s[12:13], v[10:11]
	v_mul_f64 v[10:11], v[208:209], s[20:21]
	v_add_f64 v[2:3], v[8:9], v[2:3]
	v_fma_f64 v[8:9], v[202:203], s[12:13], -v[14:15]
	v_fma_f64 v[14:15], v[200:201], s[0:1], -v[10:11]
	v_add_f64 v[6:7], v[8:9], v[6:7]
	v_fma_f64 v[8:9], v[204:205], s[0:1], v[212:213]
	v_mul_f64 v[212:213], v[221:222], s[26:27]
	v_add_f64 v[2:3], v[8:9], v[2:3]
	v_fma_f64 v[8:9], v[206:207], s[0:1], -v[214:215]
	v_mul_f64 v[214:215], v[223:224], s[26:27]
	v_add_f64 v[6:7], v[8:9], v[6:7]
	v_fma_f64 v[8:9], v[217:218], s[16:17], v[230:231]
	v_mul_f64 v[230:231], v[12:13], s[18:19]
	v_mul_f64 v[12:13], v[12:13], s[14:15]
	v_add_f64 v[118:119], v[4:5], v[6:7]
	v_add_f64 v[116:117], v[8:9], v[2:3]
	v_mul_f64 v[2:3], v[196:197], s[30:31]
	v_mul_f64 v[6:7], v[198:199], s[30:31]
	v_fma_f64 v[4:5], v[188:189], s[6:7], -v[2:3]
	v_fma_f64 v[8:9], v[190:191], s[6:7], v[6:7]
	v_fma_f64 v[2:3], v[188:189], s[6:7], v[2:3]
	v_fma_f64 v[6:7], v[190:191], s[6:7], -v[6:7]
	v_add_f64 v[4:5], v[4:5], v[134:135]
	v_add_f64 v[8:9], v[8:9], v[132:133]
	;; [unrolled: 1-line block ×5, first 2 shown]
	v_mul_f64 v[14:15], v[210:211], s[20:21]
	v_fma_f64 v[132:133], v[202:203], s[0:1], v[14:15]
	v_add_f64 v[8:9], v[132:133], v[8:9]
	v_fma_f64 v[132:133], v[204:205], s[24:25], -v[212:213]
	v_add_f64 v[4:5], v[132:133], v[4:5]
	v_fma_f64 v[132:133], v[206:207], s[24:25], v[214:215]
	v_add_f64 v[8:9], v[132:133], v[8:9]
	v_fma_f64 v[132:133], v[217:218], s[12:13], -v[230:231]
	v_add_f64 v[132:133], v[132:133], v[4:5]
	v_mul_f64 v[4:5], v[0:1], s[18:19]
	v_mul_f64 v[0:1], v[0:1], s[14:15]
	v_fma_f64 v[134:135], v[219:220], s[12:13], v[4:5]
	v_fma_f64 v[4:5], v[219:220], s[12:13], -v[4:5]
	v_add_f64 v[134:135], v[134:135], v[8:9]
	v_fma_f64 v[8:9], v[200:201], s[0:1], v[10:11]
	v_mul_f64 v[10:11], v[208:209], s[22:23]
	v_add_f64 v[2:3], v[8:9], v[2:3]
	v_fma_f64 v[8:9], v[202:203], s[0:1], -v[14:15]
	v_fma_f64 v[14:15], v[200:201], s[16:17], -v[10:11]
	v_add_f64 v[6:7], v[8:9], v[6:7]
	v_fma_f64 v[8:9], v[204:205], s[24:25], v[212:213]
	v_add_f64 v[2:3], v[8:9], v[2:3]
	v_fma_f64 v[8:9], v[206:207], s[24:25], -v[214:215]
	v_add_f64 v[6:7], v[8:9], v[6:7]
	v_fma_f64 v[8:9], v[217:218], s[12:13], v[230:231]
	v_add_f64 v[158:159], v[4:5], v[6:7]
	v_add_f64 v[156:157], v[8:9], v[2:3]
	v_mul_f64 v[2:3], v[196:197], s[28:29]
	v_mul_f64 v[6:7], v[198:199], s[28:29]
	;; [unrolled: 1-line block ×4, first 2 shown]
	v_fma_f64 v[4:5], v[188:189], s[0:1], -v[2:3]
	v_fma_f64 v[8:9], v[190:191], s[0:1], v[6:7]
	v_fma_f64 v[2:3], v[188:189], s[0:1], v[2:3]
	v_add_f64 v[4:5], v[4:5], v[194:195]
	v_add_f64 v[8:9], v[8:9], v[192:193]
	;; [unrolled: 1-line block ×4, first 2 shown]
	v_mul_f64 v[14:15], v[210:211], s[22:23]
	v_fma_f64 v[192:193], v[202:203], s[16:17], v[14:15]
	v_add_f64 v[8:9], v[192:193], v[8:9]
	v_fma_f64 v[192:193], v[204:205], s[12:13], -v[196:197]
	v_add_f64 v[4:5], v[192:193], v[4:5]
	v_fma_f64 v[192:193], v[206:207], s[12:13], v[198:199]
	v_add_f64 v[8:9], v[192:193], v[8:9]
	v_fma_f64 v[192:193], v[217:218], s[6:7], -v[12:13]
	v_add_f64 v[192:193], v[192:193], v[4:5]
	v_fma_f64 v[4:5], v[219:220], s[6:7], v[0:1]
	v_fma_f64 v[0:1], v[219:220], s[6:7], -v[0:1]
	v_add_f64 v[194:195], v[4:5], v[8:9]
	v_fma_f64 v[4:5], v[190:191], s[0:1], -v[6:7]
	v_fma_f64 v[6:7], v[200:201], s[16:17], v[10:11]
	v_fma_f64 v[8:9], v[202:203], s[16:17], -v[14:15]
	v_fma_f64 v[10:11], v[204:205], s[12:13], v[196:197]
	v_fma_f64 v[14:15], v[206:207], s[12:13], -v[198:199]
	v_cmp_gt_u16_e64 s0, 0x58, v249
	v_add_f64 v[4:5], v[4:5], v[186:187]
	v_add_f64 v[2:3], v[6:7], v[2:3]
	v_fma_f64 v[6:7], v[217:218], s[6:7], v[12:13]
	v_add_f64 v[4:5], v[8:9], v[4:5]
	v_add_f64 v[2:3], v[10:11], v[2:3]
	;; [unrolled: 1-line block ×20, first 2 shown]
                                        ; implicit-def: $vgpr168_vgpr169
	v_add_f64 v[0:1], v[0:1], v[172:173]
	v_add_f64 v[138:139], v[2:3], v[176:177]
                                        ; implicit-def: $vgpr172_vgpr173
	v_add_f64 v[136:137], v[0:1], v[178:179]
	v_mov_b32_e32 v0, 0xf2
	v_mul_u32_u24_sdwa v0, v228, v0 dst_sel:DWORD dst_unused:UNUSED_PAD src0_sel:WORD_0 src1_sel:DWORD
	v_add_lshl_u32 v252, v0, v229, 4
	ds_write_b128 v252, v[108:111] offset:352
	ds_write_b128 v252, v[112:115] offset:704
	;; [unrolled: 1-line block ×10, first 2 shown]
	ds_write_b128 v252, v[136:139]
	s_waitcnt lgkmcnt(0)
	s_barrier
	buffer_gl0_inv
	ds_read_b128 v[164:167], v250
	ds_read_b128 v[140:143], v250 offset:3872
	ds_read_b128 v[152:155], v250 offset:7744
	;; [unrolled: 1-line block ×6, first 2 shown]
	s_and_saveexec_b32 s1, s0
	s_cbranch_execz .LBB0_7
; %bb.6:
	ds_read_b128 v[156:159], v250 offset:2464
	ds_read_b128 v[116:119], v250 offset:6336
	;; [unrolled: 1-line block ×7, first 2 shown]
.LBB0_7:
	s_or_b32 exec_lo, exec_lo, s1
	v_mad_u64_u32 v[0:1], null, 0x60, v249, s[2:3]
	v_add_nc_u32_e32 v16, 0xffffffa8, v249
	s_mov_b32 s12, 0xe976ee23
	s_mov_b32 s13, 0xbfe11646
	s_mov_b32 s14, 0x429ad128
	s_mov_b32 s15, 0x3febfeb5
	v_cndmask_b32_e64 v16, v16, v227, s0
	v_add_co_u32 v2, s1, 0x800, v0
	v_add_co_ci_u32_e64 v3, s1, 0, v1, s1
	v_add_co_u32 v4, s1, 0xe70, v0
	v_add_co_ci_u32_e64 v5, s1, 0, v1, s1
	global_load_dwordx4 v[132:135], v[2:3], off offset:1648
	v_mul_i32_i24_e32 v17, 0x60, v16
	v_add_co_u32 v0, s1, 0xeb0, v0
	global_load_dwordx4 v[136:139], v[4:5], off offset:48
	v_mul_hi_i32_i24_e32 v16, 0x60, v16
	v_add_co_ci_u32_e64 v1, s1, 0, v1, s1
	v_add_co_u32 v17, s1, s2, v17
	v_add_co_ci_u32_e64 v16, s1, s3, v16, s1
	s_mov_b32 s2, 0x36b3c0b5
	v_add_co_u32 v192, s1, 0x800, v17
	v_add_co_ci_u32_e64 v193, s1, 0, v16, s1
	v_add_co_u32 v180, s1, 0xe70, v17
	v_add_co_ci_u32_e64 v181, s1, 0, v16, s1
	s_mov_b32 s18, 0x37c3f68c
	s_mov_b32 s20, 0x37e14327
	;; [unrolled: 1-line block ×15, first 2 shown]
	s_waitcnt vmcnt(1) lgkmcnt(5)
	v_mul_f64 v[6:7], v[142:143], v[134:135]
	v_mul_f64 v[8:9], v[140:141], v[134:135]
	v_fma_f64 v[6:7], v[140:141], v[132:133], -v[6:7]
	v_fma_f64 v[8:9], v[142:143], v[132:133], v[8:9]
	s_clause 0x1
	global_load_dwordx4 v[144:147], v[4:5], off offset:16
	global_load_dwordx4 v[140:143], v[4:5], off offset:32
	s_waitcnt vmcnt(1) lgkmcnt(4)
	v_mul_f64 v[4:5], v[154:155], v[146:147]
	s_waitcnt vmcnt(0) lgkmcnt(3)
	v_mul_f64 v[12:13], v[150:151], v[142:143]
	v_mul_f64 v[10:11], v[152:153], v[146:147]
	;; [unrolled: 1-line block ×3, first 2 shown]
	v_fma_f64 v[4:5], v[152:153], v[144:145], -v[4:5]
	v_fma_f64 v[12:13], v[148:149], v[140:141], -v[12:13]
	s_waitcnt lgkmcnt(2)
	v_mul_f64 v[148:149], v[122:123], v[138:139]
	v_fma_f64 v[10:11], v[154:155], v[144:145], v[10:11]
	v_fma_f64 v[14:15], v[150:151], v[140:141], v[14:15]
	v_fma_f64 v[198:199], v[120:121], v[136:137], -v[148:149]
	s_clause 0x3
	global_load_dwordx4 v[148:151], v[2:3], off offset:1712
	global_load_dwordx4 v[152:155], v[0:1], off offset:16
	;; [unrolled: 1-line block ×4, first 2 shown]
	v_mul_f64 v[120:121], v[120:121], v[138:139]
	v_fma_f64 v[200:201], v[122:123], v[136:137], v[120:121]
	v_add_f64 v[212:213], v[14:15], v[200:201]
	s_waitcnt vmcnt(3) lgkmcnt(1)
	v_mul_f64 v[0:1], v[114:115], v[150:151]
	s_waitcnt vmcnt(1)
	v_mul_f64 v[120:121], v[118:119], v[20:21]
	v_mul_f64 v[2:3], v[112:113], v[150:151]
	v_fma_f64 v[0:1], v[112:113], v[148:149], -v[0:1]
	v_fma_f64 v[176:177], v[116:117], v[18:19], -v[120:121]
	v_mul_f64 v[116:117], v[116:117], v[20:21]
	buffer_store_dword v18, off, s[40:43], 0 offset:208 ; 4-byte Folded Spill
	buffer_store_dword v19, off, s[40:43], 0 offset:212 ; 4-byte Folded Spill
	;; [unrolled: 1-line block ×4, first 2 shown]
	s_waitcnt lgkmcnt(0)
	v_mul_f64 v[112:113], v[110:111], v[154:155]
	v_fma_f64 v[2:3], v[114:115], v[148:149], v[2:3]
	v_fma_f64 v[202:203], v[108:109], v[152:153], -v[112:113]
	v_mul_f64 v[108:109], v[108:109], v[154:155]
	v_add_f64 v[210:211], v[10:11], v[2:3]
	v_add_f64 v[2:3], v[10:11], -v[2:3]
	v_add_f64 v[10:11], v[200:201], -v[14:15]
	v_fma_f64 v[204:205], v[110:111], v[152:153], v[108:109]
	v_add_f64 v[200:201], v[10:11], -v[2:3]
	v_add_f64 v[208:209], v[8:9], v[204:205]
	v_add_f64 v[8:9], v[8:9], -v[204:205]
	v_mul_f64 v[222:223], v[200:201], s[12:13]
	v_fma_f64 v[178:179], v[118:119], v[18:19], v[116:117]
	s_clause 0x1
	global_load_dwordx4 v[120:123], v[180:181], off offset:16
	global_load_dwordx4 v[18:21], v[180:181], off offset:32
	s_waitcnt vmcnt(1)
	v_mul_f64 v[180:181], v[162:163], v[122:123]
	v_fma_f64 v[182:183], v[160:161], v[120:121], -v[180:181]
	v_mul_f64 v[160:161], v[160:161], v[122:123]
	v_fma_f64 v[180:181], v[162:163], v[120:121], v[160:161]
	s_waitcnt vmcnt(0)
	v_mul_f64 v[160:161], v[130:131], v[20:21]
	v_fma_f64 v[186:187], v[128:129], v[18:19], -v[160:161]
	v_mul_f64 v[128:129], v[128:129], v[20:21]
	buffer_store_dword v18, off, s[40:43], 0 offset:240 ; 4-byte Folded Spill
	buffer_store_dword v19, off, s[40:43], 0 offset:244 ; 4-byte Folded Spill
	;; [unrolled: 1-line block ×4, first 2 shown]
	v_fma_f64 v[184:185], v[130:131], v[18:19], v[128:129]
	v_mul_f64 v[128:129], v[126:127], v[24:25]
	v_fma_f64 v[190:191], v[124:125], v[22:23], -v[128:129]
	v_mul_f64 v[124:125], v[124:125], v[24:25]
	buffer_store_dword v22, off, s[40:43], 0 offset:224 ; 4-byte Folded Spill
	buffer_store_dword v23, off, s[40:43], 0 offset:228 ; 4-byte Folded Spill
	buffer_store_dword v24, off, s[40:43], 0 offset:232 ; 4-byte Folded Spill
	buffer_store_dword v25, off, s[40:43], 0 offset:236 ; 4-byte Folded Spill
	v_add_co_u32 v128, s1, 0xeb0, v17
	v_add_co_ci_u32_e64 v129, s1, 0, v16, s1
	v_fma_f64 v[188:189], v[126:127], v[22:23], v[124:125]
	s_clause 0x1
	global_load_dwordx4 v[124:127], v[192:193], off offset:1712
	global_load_dwordx4 v[128:131], v[128:129], off offset:16
	s_waitcnt vmcnt(1)
	v_mul_f64 v[160:161], v[170:171], v[126:127]
	v_fma_f64 v[194:195], v[168:169], v[124:125], -v[160:161]
	v_mul_f64 v[160:161], v[168:169], v[126:127]
	v_add_f64 v[168:169], v[6:7], v[202:203]
	v_add_f64 v[6:7], v[6:7], -v[202:203]
	v_fma_f64 v[192:193], v[170:171], v[124:125], v[160:161]
	s_waitcnt vmcnt(0)
	v_mul_f64 v[160:161], v[174:175], v[130:131]
	v_add_f64 v[170:171], v[4:5], v[0:1]
	v_add_f64 v[0:1], v[4:5], -v[0:1]
	v_add_f64 v[4:5], v[198:199], -v[12:13]
	v_fma_f64 v[196:197], v[172:173], v[128:129], -v[160:161]
	v_mul_f64 v[160:161], v[172:173], v[130:131]
	v_fma_f64 v[172:173], v[174:175], v[128:129], v[160:161]
	v_add_f64 v[174:175], v[12:13], v[198:199]
	v_add_f64 v[160:161], v[170:171], v[168:169]
	;; [unrolled: 1-line block ×3, first 2 shown]
	v_add_f64 v[12:13], v[170:171], -v[168:169]
	v_add_f64 v[2:3], v[2:3], -v[8:9]
	;; [unrolled: 1-line block ×3, first 2 shown]
	v_add_f64 v[206:207], v[174:175], v[160:161]
	v_add_f64 v[160:161], v[210:211], v[208:209]
	v_add_f64 v[170:171], v[210:211], -v[208:209]
	v_add_f64 v[210:211], v[212:213], -v[210:211]
	v_add_f64 v[218:219], v[198:199], v[8:9]
	v_add_f64 v[168:169], v[168:169], -v[174:175]
	v_add_f64 v[174:175], v[208:209], -v[212:213]
	v_add_f64 v[214:215], v[212:213], v[160:161]
	v_add_f64 v[160:161], v[164:165], v[206:207]
	;; [unrolled: 1-line block ×4, first 2 shown]
	v_add_f64 v[166:167], v[4:5], -v[0:1]
	v_add_f64 v[0:1], v[0:1], -v[6:7]
	v_add_f64 v[216:217], v[164:165], v[6:7]
	v_mul_f64 v[164:165], v[14:15], s[2:3]
	v_add_f64 v[4:5], v[6:7], -v[4:5]
	v_add_f64 v[6:7], v[8:9], -v[10:11]
	v_mul_f64 v[8:9], v[168:169], s[20:21]
	v_mul_f64 v[10:11], v[174:175], s[20:21]
	v_fma_f64 v[227:228], v[206:207], s[6:7], v[160:161]
	v_fma_f64 v[214:215], v[214:215], s[6:7], v[162:163]
	v_mul_f64 v[220:221], v[166:167], s[12:13]
	v_mul_f64 v[166:167], v[210:211], s[2:3]
	v_fma_f64 v[164:165], v[12:13], s[16:17], -v[164:165]
	v_fma_f64 v[12:13], v[12:13], s[22:23], -v[8:9]
	v_fma_f64 v[168:169], v[170:171], s[22:23], -v[10:11]
	v_fma_f64 v[198:199], v[0:1], s[14:15], -v[220:221]
	v_mul_f64 v[0:1], v[0:1], s[14:15]
	v_fma_f64 v[166:167], v[170:171], s[16:17], -v[166:167]
	v_add_f64 v[202:203], v[164:165], v[227:228]
	v_add_f64 v[12:13], v[12:13], v[227:228]
	;; [unrolled: 1-line block ×3, first 2 shown]
	v_fma_f64 v[200:201], v[216:217], s[18:19], v[198:199]
	v_fma_f64 v[198:199], v[2:3], s[14:15], -v[222:223]
	v_mul_f64 v[2:3], v[2:3], s[14:15]
	v_fma_f64 v[0:1], v[4:5], s[26:27], -v[0:1]
	v_add_f64 v[204:205], v[166:167], v[214:215]
	v_fma_f64 v[198:199], v[218:219], s[18:19], v[198:199]
	v_fma_f64 v[2:3], v[6:7], s[26:27], -v[2:3]
	v_fma_f64 v[0:1], v[216:217], s[18:19], v[0:1]
	v_add_f64 v[166:167], v[200:201], v[204:205]
	v_add_f64 v[200:201], v[204:205], -v[200:201]
	v_add_f64 v[164:165], v[202:203], -v[198:199]
	v_fma_f64 v[2:3], v[218:219], s[18:19], v[2:3]
	v_add_f64 v[198:199], v[198:199], v[202:203]
	v_add_f64 v[204:205], v[168:169], -v[0:1]
	v_add_f64 v[208:209], v[0:1], v[168:169]
	v_fma_f64 v[0:1], v[4:5], s[24:25], v[220:221]
	v_fma_f64 v[4:5], v[14:15], s[2:3], v[8:9]
	v_add_f64 v[8:9], v[178:179], v[172:173]
	v_add_f64 v[202:203], v[2:3], v[12:13]
	v_add_f64 v[206:207], v[12:13], -v[2:3]
	v_fma_f64 v[2:3], v[6:7], s[24:25], v[222:223]
	v_fma_f64 v[6:7], v[210:211], s[2:3], v[10:11]
	v_fma_f64 v[0:1], v[216:217], s[18:19], v[0:1]
	v_add_f64 v[4:5], v[4:5], v[227:228]
	v_add_f64 v[10:11], v[180:181], v[192:193]
	;; [unrolled: 1-line block ×3, first 2 shown]
	v_fma_f64 v[2:3], v[218:219], s[18:19], v[2:3]
	v_add_f64 v[6:7], v[6:7], v[214:215]
	v_add_f64 v[14:15], v[10:11], v[8:9]
	;; [unrolled: 1-line block ×3, first 2 shown]
	v_add_f64 v[215:216], v[6:7], -v[0:1]
	v_add_f64 v[217:218], v[4:5], -v[2:3]
	v_add_f64 v[219:220], v[0:1], v[6:7]
	v_add_f64 v[0:1], v[176:177], v[196:197]
	;; [unrolled: 1-line block ×5, first 2 shown]
	ds_write_b128 v250, v[160:163]
	ds_write_b128 v250, v[213:216] offset:3872
	ds_write_b128 v250, v[202:205] offset:7744
	;; [unrolled: 1-line block ×6, first 2 shown]
	v_add_f64 v[160:161], v[176:177], -v[196:197]
	v_add_f64 v[162:163], v[178:179], -v[172:173]
	;; [unrolled: 1-line block ×4, first 2 shown]
	v_add_f64 v[6:7], v[2:3], v[0:1]
	v_add_f64 v[172:173], v[2:3], -v[0:1]
	v_add_f64 v[170:171], v[158:159], v[14:15]
	v_add_f64 v[158:159], v[190:191], -v[186:187]
	v_add_f64 v[0:1], v[0:1], -v[4:5]
	;; [unrolled: 1-line block ×4, first 2 shown]
	v_add_f64 v[6:7], v[4:5], v[6:7]
	v_add_f64 v[4:5], v[10:11], -v[8:9]
	v_add_f64 v[8:9], v[8:9], -v[12:13]
	;; [unrolled: 1-line block ×3, first 2 shown]
	v_mul_f64 v[0:1], v[0:1], s[20:21]
	v_add_f64 v[168:169], v[156:157], v[6:7]
	v_add_f64 v[156:157], v[182:183], -v[194:195]
	v_mul_f64 v[8:9], v[8:9], s[20:21]
	v_fma_f64 v[6:7], v[6:7], s[6:7], v[168:169]
	v_add_f64 v[12:13], v[158:159], v[156:157]
	v_add_f64 v[174:175], v[158:159], -v[156:157]
	v_add_f64 v[158:159], v[160:161], -v[158:159]
	;; [unrolled: 1-line block ×3, first 2 shown]
	v_add_f64 v[12:13], v[12:13], v[160:161]
	v_add_f64 v[160:161], v[166:167], v[164:165]
	v_add_f64 v[166:167], v[162:163], -v[166:167]
	v_add_f64 v[164:165], v[164:165], -v[162:163]
	v_add_f64 v[160:161], v[160:161], v[162:163]
	v_mul_f64 v[162:163], v[2:3], s[2:3]
	v_fma_f64 v[2:3], v[2:3], s[2:3], v[0:1]
	v_fma_f64 v[0:1], v[172:173], s[22:23], -v[0:1]
	v_fma_f64 v[162:163], v[172:173], s[16:17], -v[162:163]
	v_mul_f64 v[172:173], v[174:175], s[12:13]
	v_mul_f64 v[174:175], v[156:157], s[14:15]
	v_add_f64 v[184:185], v[0:1], v[6:7]
	v_fma_f64 v[0:1], v[14:15], s[6:7], v[170:171]
	v_add_f64 v[182:183], v[2:3], v[6:7]
	v_add_f64 v[180:181], v[162:163], v[6:7]
	v_fma_f64 v[156:157], v[156:157], s[14:15], -v[172:173]
	v_fma_f64 v[172:173], v[158:159], s[24:25], v[172:173]
	v_fma_f64 v[158:159], v[158:159], s[26:27], -v[174:175]
	v_mul_f64 v[174:175], v[176:177], s[12:13]
	v_mul_f64 v[176:177], v[164:165], s[14:15]
	v_fma_f64 v[190:191], v[12:13], s[18:19], v[156:157]
	v_fma_f64 v[186:187], v[12:13], s[18:19], v[158:159]
	v_fma_f64 v[164:165], v[164:165], s[14:15], -v[174:175]
	v_fma_f64 v[178:179], v[166:167], s[24:25], v[174:175]
	v_mul_f64 v[174:175], v[10:11], s[2:3]
	v_fma_f64 v[166:167], v[166:167], s[26:27], -v[176:177]
	v_fma_f64 v[10:11], v[10:11], s[2:3], v[8:9]
	v_fma_f64 v[176:177], v[160:161], s[18:19], v[178:179]
	v_fma_f64 v[188:189], v[4:5], s[16:17], -v[174:175]
	v_fma_f64 v[4:5], v[4:5], s[22:23], -v[8:9]
	v_fma_f64 v[174:175], v[12:13], s[18:19], v[172:173]
	v_fma_f64 v[172:173], v[160:161], s[18:19], v[164:165]
	;; [unrolled: 1-line block ×3, first 2 shown]
	v_add_f64 v[160:161], v[182:183], -v[176:177]
	v_add_f64 v[194:195], v[188:189], v[0:1]
	v_add_f64 v[192:193], v[4:5], v[0:1]
	;; [unrolled: 1-line block ×4, first 2 shown]
	v_add_f64 v[156:157], v[184:185], -v[178:179]
	v_add_f64 v[166:167], v[194:195], -v[190:191]
	v_add_f64 v[158:159], v[186:187], v[192:193]
	v_add_f64 v[162:163], v[174:175], v[188:189]
	s_and_saveexec_b32 s1, s0
	s_cbranch_execz .LBB0_9
; %bb.8:
	v_add_f64 v[190:191], v[190:191], v[194:195]
	v_add_f64 v[186:187], v[192:193], -v[186:187]
	v_add_f64 v[194:195], v[188:189], -v[174:175]
	v_add_f64 v[192:193], v[176:177], v[182:183]
	v_add_f64 v[184:185], v[178:179], v[184:185]
	v_add_f64 v[188:189], v[180:181], -v[172:173]
	ds_write_b128 v250, v[168:171] offset:2464
	ds_write_b128 v250, v[164:167] offset:17952
	;; [unrolled: 1-line block ×7, first 2 shown]
.LBB0_9:
	s_or_b32 exec_lo, exec_lo, s1
	v_add_co_u32 v0, s1, 0x6800, v225
	v_add_co_ci_u32_e64 v1, s1, 0, v226, s1
	s_waitcnt lgkmcnt(0)
	s_waitcnt_vscnt null, 0x0
	s_barrier
	buffer_gl0_inv
	global_load_dwordx4 v[168:171], v[0:1], off offset:480
	v_add_co_u32 v0, s1, 0x7000, v225
	v_add_co_ci_u32_e64 v1, s1, 0, v226, s1
	s_mov_b32 s28, 0xf8bb580b
	s_mov_b32 s22, 0x8764f0ba
	s_mov_b32 s6, 0x8eee2c13
	global_load_dwordx4 v[172:175], v[0:1], off offset:896
	v_add_co_u32 v0, s1, 0x7800, v225
	v_add_co_ci_u32_e64 v1, s1, 0, v226, s1
	s_mov_b32 s18, 0xd9c712b6
	s_mov_b32 s12, 0x43842ef
	s_mov_b32 s20, 0x640f44db
	;; [unrolled: 6-line block ×7, first 2 shown]
	global_load_dwordx4 v[196:199], v[0:1], off offset:1344
	v_add_co_u32 v0, s1, 0xb000, v225
	v_add_co_ci_u32_e64 v1, s1, 0, v226, s1
	v_add_co_u32 v2, s1, 0xc000, v225
	v_add_co_ci_u32_e64 v3, s1, 0, v226, s1
	global_load_dwordx4 v[200:203], v[0:1], off offset:1760
	v_add_co_u32 v0, s1, 0xc800, v225
	v_add_co_ci_u32_e64 v1, s1, 0, v226, s1
	s_clause 0x1
	global_load_dwordx4 v[204:207], v[2:3], off offset:128
	global_load_dwordx4 v[208:211], v[0:1], off offset:544
	ds_read_b128 v[213:216], v250
	ds_read_b128 v[217:220], v250 offset:2464
	ds_read_b128 v[221:224], v250 offset:4928
	;; [unrolled: 1-line block ×3, first 2 shown]
	s_mov_b32 s17, 0x3fefac9e
	s_mov_b32 s39, 0x3fe82f19
	;; [unrolled: 1-line block ×8, first 2 shown]
	s_waitcnt vmcnt(10) lgkmcnt(3)
	v_mul_f64 v[0:1], v[215:216], v[170:171]
	v_mul_f64 v[2:3], v[213:214], v[170:171]
	s_waitcnt vmcnt(9) lgkmcnt(2)
	v_mul_f64 v[4:5], v[219:220], v[174:175]
	v_mul_f64 v[6:7], v[217:218], v[174:175]
	;; [unrolled: 3-line block ×3, first 2 shown]
	v_fma_f64 v[213:214], v[213:214], v[168:169], -v[0:1]
	v_fma_f64 v[215:216], v[215:216], v[168:169], v[2:3]
	s_waitcnt vmcnt(7) lgkmcnt(0)
	v_mul_f64 v[0:1], v[227:228], v[182:183]
	v_mul_f64 v[2:3], v[225:226], v[182:183]
	ds_read_b128 v[168:171], v250 offset:9856
	ds_read_b128 v[229:232], v250 offset:12320
	v_fma_f64 v[217:218], v[217:218], v[172:173], -v[4:5]
	v_fma_f64 v[219:220], v[219:220], v[172:173], v[6:7]
	v_fma_f64 v[172:173], v[221:222], v[176:177], -v[8:9]
	v_fma_f64 v[174:175], v[223:224], v[176:177], v[10:11]
	ds_read_b128 v[176:179], v250 offset:14784
	s_waitcnt vmcnt(6) lgkmcnt(2)
	v_mul_f64 v[4:5], v[170:171], v[186:187]
	v_mul_f64 v[6:7], v[168:169], v[186:187]
	s_waitcnt vmcnt(5) lgkmcnt(1)
	v_mul_f64 v[8:9], v[231:232], v[190:191]
	v_mul_f64 v[10:11], v[229:230], v[190:191]
	v_fma_f64 v[221:222], v[225:226], v[180:181], -v[0:1]
	v_fma_f64 v[223:224], v[227:228], v[180:181], v[2:3]
	ds_read_b128 v[180:183], v250 offset:17248
	s_waitcnt vmcnt(4) lgkmcnt(1)
	v_mul_f64 v[0:1], v[178:179], v[194:195]
	v_mul_f64 v[2:3], v[176:177], v[194:195]
	v_fma_f64 v[168:169], v[168:169], v[184:185], -v[4:5]
	v_fma_f64 v[170:171], v[170:171], v[184:185], v[6:7]
	ds_read_b128 v[184:187], v250 offset:19712
	ds_read_b128 v[225:228], v250 offset:22176
	v_fma_f64 v[229:230], v[229:230], v[188:189], -v[8:9]
	s_waitcnt vmcnt(3) lgkmcnt(2)
	v_mul_f64 v[4:5], v[182:183], v[198:199]
	v_mul_f64 v[6:7], v[180:181], v[198:199]
	v_fma_f64 v[231:232], v[231:232], v[188:189], v[10:11]
	ds_read_b128 v[188:191], v250 offset:24640
	v_fma_f64 v[176:177], v[176:177], v[192:193], -v[0:1]
	v_fma_f64 v[178:179], v[178:179], v[192:193], v[2:3]
	s_waitcnt vmcnt(2) lgkmcnt(2)
	v_mul_f64 v[0:1], v[186:187], v[202:203]
	v_mul_f64 v[2:3], v[184:185], v[202:203]
	s_waitcnt vmcnt(1) lgkmcnt(1)
	v_mul_f64 v[8:9], v[227:228], v[206:207]
	v_mul_f64 v[10:11], v[225:226], v[206:207]
	v_fma_f64 v[180:181], v[180:181], v[196:197], -v[4:5]
	v_fma_f64 v[182:183], v[182:183], v[196:197], v[6:7]
	s_waitcnt vmcnt(0) lgkmcnt(0)
	v_mul_f64 v[4:5], v[190:191], v[210:211]
	v_mul_f64 v[6:7], v[188:189], v[210:211]
	v_fma_f64 v[184:185], v[184:185], v[200:201], -v[0:1]
	v_fma_f64 v[186:187], v[186:187], v[200:201], v[2:3]
	v_fma_f64 v[192:193], v[225:226], v[204:205], -v[8:9]
	v_fma_f64 v[194:195], v[227:228], v[204:205], v[10:11]
	v_fma_f64 v[188:189], v[188:189], v[208:209], -v[4:5]
	v_fma_f64 v[190:191], v[190:191], v[208:209], v[6:7]
	ds_write_b128 v250, v[213:216]
	ds_write_b128 v250, v[217:220] offset:2464
	ds_write_b128 v250, v[172:175] offset:4928
	;; [unrolled: 1-line block ×10, first 2 shown]
	s_waitcnt lgkmcnt(0)
	s_barrier
	buffer_gl0_inv
	ds_read_b128 v[172:175], v250 offset:2464
	ds_read_b128 v[176:179], v250
	ds_read_b128 v[180:183], v250 offset:4928
	ds_read_b128 v[235:238], v250 offset:7392
	;; [unrolled: 1-line block ×6, first 2 shown]
	s_waitcnt lgkmcnt(6)
	v_add_f64 v[0:1], v[176:177], v[172:173]
	v_add_f64 v[2:3], v[178:179], v[174:175]
	s_waitcnt lgkmcnt(3)
	v_add_f64 v[4:5], v[174:175], -v[170:171]
	v_add_f64 v[6:7], v[174:175], v[170:171]
	v_add_f64 v[8:9], v[172:173], v[168:169]
	v_add_f64 v[10:11], v[172:173], -v[168:169]
	ds_read_b128 v[172:175], v250 offset:17248
	s_waitcnt lgkmcnt(1)
	v_add_f64 v[192:193], v[194:195], v[198:199]
	v_add_f64 v[190:191], v[196:197], v[200:201]
	v_add_f64 v[188:189], v[194:195], -v[198:199]
	v_add_f64 v[0:1], v[0:1], v[180:181]
	v_add_f64 v[2:3], v[2:3], v[182:183]
	v_mul_f64 v[12:13], v[4:5], s[28:29]
	v_mul_f64 v[14:15], v[6:7], s[22:23]
	;; [unrolled: 1-line block ×8, first 2 shown]
	v_add_f64 v[0:1], v[0:1], v[235:236]
	v_add_f64 v[2:3], v[2:3], v[237:238]
	v_fma_f64 v[212:213], v[8:9], s[22:23], v[12:13]
	v_fma_f64 v[214:215], v[10:11], s[2:3], v[14:15]
	v_fma_f64 v[12:13], v[8:9], s[22:23], -v[12:13]
	v_fma_f64 v[216:217], v[8:9], s[18:19], v[202:203]
	v_fma_f64 v[218:219], v[10:11], s[14:15], v[204:205]
	v_fma_f64 v[202:203], v[8:9], s[18:19], -v[202:203]
	;; [unrolled: 3-line block ×3, first 2 shown]
	v_fma_f64 v[222:223], v[8:9], s[26:27], v[208:209]
	v_fma_f64 v[208:209], v[8:9], s[26:27], -v[208:209]
	v_fma_f64 v[224:225], v[8:9], s[36:37], v[4:5]
	v_fma_f64 v[4:5], v[8:9], s[36:37], -v[4:5]
	v_fma_f64 v[8:9], v[10:11], s[16:17], v[210:211]
	v_fma_f64 v[210:211], v[10:11], s[12:13], v[210:211]
	;; [unrolled: 1-line block ×3, first 2 shown]
	v_add_f64 v[0:1], v[0:1], v[184:185]
	v_add_f64 v[2:3], v[2:3], v[186:187]
	;; [unrolled: 1-line block ×13, first 2 shown]
	v_add_f64 v[194:195], v[196:197], -v[200:201]
	v_mul_f64 v[196:197], v[6:7], s[26:27]
	v_mul_f64 v[6:7], v[6:7], s[36:37]
	v_add_f64 v[0:1], v[0:1], v[198:199]
	v_add_f64 v[2:3], v[2:3], v[200:201]
	;; [unrolled: 1-line block ×3, first 2 shown]
	v_fma_f64 v[226:227], v[10:11], s[38:39], v[196:197]
	v_fma_f64 v[228:229], v[10:11], s[24:25], v[196:197]
	;; [unrolled: 1-line block ×4, first 2 shown]
	v_add_f64 v[10:11], v[176:177], v[212:213]
	v_add_f64 v[196:197], v[176:177], v[202:203]
	;; [unrolled: 1-line block ×6, first 2 shown]
	s_waitcnt lgkmcnt(0)
	v_add_f64 v[223:224], v[186:187], v[174:175]
	v_add_f64 v[221:222], v[184:185], -v[172:173]
	v_add_f64 v[0:1], v[0:1], v[172:173]
	v_add_f64 v[2:3], v[2:3], v[174:175]
	;; [unrolled: 1-line block ×5, first 2 shown]
	v_add_f64 v[227:228], v[186:187], -v[174:175]
	ds_read_b128 v[172:175], v250 offset:19712
	ds_read_b128 v[184:187], v250 offset:22176
	v_add_f64 v[215:216], v[178:179], v[230:231]
	v_add_f64 v[219:220], v[178:179], v[6:7]
	s_waitcnt lgkmcnt(0)
	s_barrier
	buffer_gl0_inv
	v_add_f64 v[245:246], v[0:1], v[172:173]
	v_add_f64 v[243:244], v[182:183], -v[186:187]
	v_add_f64 v[241:242], v[180:181], v[184:185]
	v_add_f64 v[233:234], v[235:236], v[172:173]
	v_add_f64 v[229:230], v[235:236], -v[172:173]
	v_add_f64 v[235:236], v[237:238], -v[174:175]
	v_add_f64 v[247:248], v[2:3], v[174:175]
	v_add_f64 v[239:240], v[182:183], v[186:187]
	;; [unrolled: 1-line block ×3, first 2 shown]
	v_add_f64 v[237:238], v[180:181], -v[184:185]
	v_mul_f64 v[180:181], v[194:195], s[30:31]
	v_mul_f64 v[0:1], v[243:244], s[6:7]
	;; [unrolled: 1-line block ×3, first 2 shown]
	v_fma_f64 v[2:3], v[241:242], s[18:19], v[0:1]
	v_fma_f64 v[0:1], v[241:242], s[18:19], -v[0:1]
	v_fma_f64 v[6:7], v[237:238], s[14:15], v[4:5]
	v_fma_f64 v[4:5], v[237:238], s[6:7], v[4:5]
	v_add_f64 v[2:3], v[2:3], v[10:11]
	v_mul_f64 v[10:11], v[235:236], s[12:13]
	v_add_f64 v[0:1], v[0:1], v[12:13]
	v_add_f64 v[6:7], v[6:7], v[254:255]
	;; [unrolled: 1-line block ×3, first 2 shown]
	v_mul_f64 v[254:255], v[243:244], s[34:35]
	v_fma_f64 v[22:23], v[233:234], s[20:21], v[10:11]
	v_add_f64 v[2:3], v[22:23], v[2:3]
	v_mul_f64 v[22:23], v[231:232], s[20:21]
	v_fma_f64 v[172:173], v[229:230], s[16:17], v[22:23]
	v_add_f64 v[6:7], v[172:173], v[6:7]
	;; [unrolled: 3-line block ×4, first 2 shown]
	v_fma_f64 v[176:177], v[192:193], s[36:37], v[180:181]
	v_add_f64 v[176:177], v[176:177], v[2:3]
	v_mul_f64 v[2:3], v[190:191], s[36:37]
	v_fma_f64 v[178:179], v[188:189], s[34:35], v[2:3]
	v_fma_f64 v[2:3], v[188:189], s[30:31], v[2:3]
	v_add_f64 v[178:179], v[178:179], v[6:7]
	v_fma_f64 v[6:7], v[233:234], s[20:21], -v[10:11]
	v_mul_f64 v[10:11], v[235:236], s[34:35]
	v_add_f64 v[0:1], v[6:7], v[0:1]
	v_fma_f64 v[6:7], v[229:230], s[12:13], v[22:23]
	v_fma_f64 v[12:13], v[233:234], s[36:37], v[10:11]
	v_fma_f64 v[10:11], v[233:234], s[36:37], -v[10:11]
	v_add_f64 v[4:5], v[6:7], v[4:5]
	v_fma_f64 v[6:7], v[225:226], s[26:27], -v[172:173]
	v_add_f64 v[0:1], v[6:7], v[0:1]
	v_fma_f64 v[6:7], v[221:222], s[24:25], v[174:175]
	v_add_f64 v[4:5], v[6:7], v[4:5]
	v_fma_f64 v[6:7], v[192:193], s[36:37], -v[180:181]
	v_add_f64 v[174:175], v[2:3], v[4:5]
	v_mul_f64 v[4:5], v[243:244], s[24:25]
	v_add_f64 v[172:173], v[6:7], v[0:1]
	v_mul_f64 v[6:7], v[239:240], s[26:27]
	v_fma_f64 v[0:1], v[241:242], s[26:27], v[4:5]
	v_fma_f64 v[4:5], v[241:242], s[26:27], -v[4:5]
	v_fma_f64 v[2:3], v[237:238], s[38:39], v[6:7]
	v_fma_f64 v[6:7], v[237:238], s[24:25], v[6:7]
	v_add_f64 v[0:1], v[0:1], v[16:17]
	v_add_f64 v[4:5], v[4:5], v[196:197]
	;; [unrolled: 1-line block ×4, first 2 shown]
	v_mul_f64 v[196:197], v[194:195], s[14:15]
	v_add_f64 v[0:1], v[12:13], v[0:1]
	v_mul_f64 v[12:13], v[231:232], s[36:37]
	v_add_f64 v[4:5], v[10:11], v[4:5]
	v_mul_f64 v[10:11], v[190:191], s[18:19]
	v_fma_f64 v[198:199], v[192:193], s[18:19], v[196:197]
	v_fma_f64 v[196:197], v[192:193], s[18:19], -v[196:197]
	v_fma_f64 v[14:15], v[229:230], s[30:31], v[12:13]
	v_fma_f64 v[12:13], v[229:230], s[34:35], v[12:13]
	v_add_f64 v[2:3], v[14:15], v[2:3]
	v_mul_f64 v[14:15], v[227:228], s[16:17]
	v_add_f64 v[6:7], v[12:13], v[6:7]
	v_mul_f64 v[12:13], v[190:191], s[20:21]
	v_fma_f64 v[16:17], v[225:226], s[20:21], v[14:15]
	v_fma_f64 v[14:15], v[225:226], s[20:21], -v[14:15]
	v_add_f64 v[0:1], v[16:17], v[0:1]
	v_mul_f64 v[16:17], v[223:224], s[20:21]
	v_add_f64 v[4:5], v[14:15], v[4:5]
	v_fma_f64 v[18:19], v[221:222], s[12:13], v[16:17]
	v_fma_f64 v[16:17], v[221:222], s[16:17], v[16:17]
	v_add_f64 v[2:3], v[18:19], v[2:3]
	v_mul_f64 v[18:19], v[194:195], s[2:3]
	v_add_f64 v[6:7], v[16:17], v[6:7]
	v_fma_f64 v[22:23], v[192:193], s[22:23], v[18:19]
	v_fma_f64 v[18:19], v[192:193], s[22:23], -v[18:19]
	v_add_f64 v[180:181], v[22:23], v[0:1]
	v_mul_f64 v[22:23], v[190:191], s[22:23]
	v_fma_f64 v[0:1], v[188:189], s[28:29], v[22:23]
	v_fma_f64 v[22:23], v[188:189], s[2:3], v[22:23]
	v_add_f64 v[182:183], v[0:1], v[2:3]
	v_fma_f64 v[0:1], v[241:242], s[36:37], v[254:255]
	v_add_f64 v[0:1], v[0:1], v[20:21]
	v_mul_f64 v[20:21], v[239:240], s[36:37]
	v_fma_f64 v[2:3], v[237:238], s[30:31], v[20:21]
	v_fma_f64 v[20:21], v[237:238], s[34:35], v[20:21]
	v_add_f64 v[2:3], v[2:3], v[8:9]
	v_mul_f64 v[8:9], v[235:236], s[14:15]
	v_add_f64 v[20:21], v[20:21], v[202:203]
	v_fma_f64 v[24:25], v[233:234], s[18:19], v[8:9]
	v_fma_f64 v[8:9], v[233:234], s[18:19], -v[8:9]
	v_add_f64 v[0:1], v[24:25], v[0:1]
	v_mul_f64 v[24:25], v[231:232], s[18:19]
	v_fma_f64 v[26:27], v[229:230], s[6:7], v[24:25]
	v_fma_f64 v[24:25], v[229:230], s[14:15], v[24:25]
	v_add_f64 v[2:3], v[26:27], v[2:3]
	v_mul_f64 v[26:27], v[227:228], s[28:29]
	v_add_f64 v[20:21], v[24:25], v[20:21]
	v_fma_f64 v[28:29], v[225:226], s[22:23], v[26:27]
	v_fma_f64 v[26:27], v[225:226], s[22:23], -v[26:27]
	v_add_f64 v[0:1], v[28:29], v[0:1]
	v_mul_f64 v[28:29], v[223:224], s[22:23]
	v_fma_f64 v[30:31], v[221:222], s[2:3], v[28:29]
	v_fma_f64 v[28:29], v[221:222], s[28:29], v[28:29]
	v_add_f64 v[2:3], v[30:31], v[2:3]
	v_mul_f64 v[30:31], v[194:195], s[24:25]
	v_mul_f64 v[194:195], v[194:195], s[12:13]
	v_add_f64 v[20:21], v[28:29], v[20:21]
	v_fma_f64 v[32:33], v[192:193], s[26:27], v[30:31]
	v_fma_f64 v[30:31], v[192:193], s[26:27], -v[30:31]
	v_add_f64 v[0:1], v[32:33], v[0:1]
	v_mul_f64 v[32:33], v[190:191], s[26:27]
	v_fma_f64 v[190:191], v[188:189], s[6:7], v[10:11]
	v_fma_f64 v[10:11], v[188:189], s[14:15], v[10:11]
	;; [unrolled: 1-line block ×4, first 2 shown]
	v_add_f64 v[2:3], v[34:35], v[2:3]
	v_add_f64 v[34:35], v[245:246], v[184:185]
	v_add_f64 v[245:246], v[247:248], v[186:187]
	v_mul_f64 v[184:185], v[243:244], s[16:17]
	v_mul_f64 v[186:187], v[243:244], s[2:3]
	v_fma_f64 v[243:244], v[241:242], s[36:37], -v[254:255]
	v_add_f64 v[168:169], v[34:35], v[168:169]
	v_add_f64 v[170:171], v[245:246], v[170:171]
	v_fma_f64 v[247:248], v[241:242], s[20:21], v[184:185]
	v_fma_f64 v[184:185], v[241:242], s[20:21], -v[184:185]
	v_fma_f64 v[254:255], v[241:242], s[22:23], v[186:187]
	v_fma_f64 v[186:187], v[241:242], s[22:23], -v[186:187]
	v_mul_f64 v[241:242], v[239:240], s[20:21]
	v_mul_f64 v[239:240], v[239:240], s[22:23]
	v_add_f64 v[200:201], v[243:244], v[200:201]
	v_add_f64 v[202:203], v[247:248], v[204:205]
	;; [unrolled: 1-line block ×5, first 2 shown]
	v_fma_f64 v[36:37], v[237:238], s[12:13], v[241:242]
	v_fma_f64 v[38:39], v[237:238], s[16:17], v[241:242]
	;; [unrolled: 1-line block ×4, first 2 shown]
	v_mul_f64 v[237:238], v[235:236], s[28:29]
	v_mul_f64 v[235:236], v[235:236], s[24:25]
	v_add_f64 v[8:9], v[8:9], v[200:201]
	v_fma_f64 v[200:201], v[188:189], s[16:17], v[12:13]
	v_fma_f64 v[12:13], v[188:189], s[12:13], v[12:13]
	v_add_f64 v[36:37], v[36:37], v[206:207]
	v_add_f64 v[38:39], v[38:39], v[210:211]
	;; [unrolled: 1-line block ×4, first 2 shown]
	v_fma_f64 v[40:41], v[233:234], s[22:23], v[237:238]
	v_fma_f64 v[42:43], v[233:234], s[22:23], -v[237:238]
	v_fma_f64 v[237:238], v[233:234], s[26:27], v[235:236]
	v_fma_f64 v[235:236], v[233:234], s[26:27], -v[235:236]
	v_mul_f64 v[233:234], v[231:232], s[22:23]
	v_mul_f64 v[231:232], v[231:232], s[26:27]
	v_add_f64 v[8:9], v[26:27], v[8:9]
	v_fma_f64 v[210:211], v[192:193], s[20:21], v[194:195]
	v_fma_f64 v[194:195], v[192:193], s[20:21], -v[194:195]
	v_add_f64 v[24:25], v[40:41], v[202:203]
	v_add_f64 v[40:41], v[42:43], v[184:185]
	;; [unrolled: 1-line block ×4, first 2 shown]
	v_fma_f64 v[108:109], v[229:230], s[2:3], v[233:234]
	v_fma_f64 v[110:111], v[229:230], s[28:29], v[233:234]
	;; [unrolled: 1-line block ×4, first 2 shown]
	v_mul_f64 v[229:230], v[227:228], s[30:31]
	v_mul_f64 v[227:228], v[227:228], s[14:15]
	v_add_f64 v[36:37], v[108:109], v[36:37]
	v_add_f64 v[38:39], v[110:111], v[38:39]
	v_add_f64 v[108:109], v[233:234], v[206:207]
	v_add_f64 v[110:111], v[235:236], v[186:187]
	v_fma_f64 v[112:113], v[225:226], s[36:37], v[229:230]
	v_fma_f64 v[114:115], v[225:226], s[36:37], -v[229:230]
	v_fma_f64 v[229:230], v[225:226], s[18:19], v[227:228]
	v_fma_f64 v[227:228], v[225:226], s[18:19], -v[227:228]
	v_mul_f64 v[225:226], v[223:224], s[36:37]
	v_mul_f64 v[223:224], v[223:224], s[18:19]
	v_add_f64 v[184:185], v[231:232], v[208:209]
	v_add_f64 v[186:187], v[32:33], v[20:21]
	;; [unrolled: 1-line block ×5, first 2 shown]
	v_fma_f64 v[116:117], v[221:222], s[34:35], v[225:226]
	v_fma_f64 v[118:119], v[221:222], s[30:31], v[225:226]
	;; [unrolled: 1-line block ×4, first 2 shown]
	v_add_f64 v[188:189], v[198:199], v[24:25]
	v_add_f64 v[192:193], v[196:197], v[28:29]
	;; [unrolled: 1-line block ×15, first 2 shown]
	ds_write_b128 v251, v[176:179] offset:16
	ds_write_b128 v251, v[180:183] offset:32
	;; [unrolled: 1-line block ×10, first 2 shown]
	ds_write_b128 v251, v[168:171]
	s_waitcnt lgkmcnt(0)
	s_barrier
	buffer_gl0_inv
	ds_read_b128 v[168:171], v250
	ds_read_b128 v[176:179], v250 offset:2464
	ds_read_b128 v[192:195], v250 offset:16016
	ds_read_b128 v[196:199], v250 offset:18480
	ds_read_b128 v[184:187], v250 offset:4928
	ds_read_b128 v[188:191], v250 offset:7392
	ds_read_b128 v[208:211], v250 offset:13552
	ds_read_b128 v[180:183], v250 offset:9856
	ds_read_b128 v[200:203], v250 offset:20944
	ds_read_b128 v[204:207], v250 offset:23408
	s_and_saveexec_b32 s1, vcc_lo
	s_cbranch_execz .LBB0_11
; %bb.10:
	ds_read_b128 v[172:175], v250 offset:12320
	ds_read_b128 v[164:167], v250 offset:25872
.LBB0_11:
	s_or_b32 exec_lo, exec_lo, s1
	s_waitcnt lgkmcnt(7)
	v_mul_f64 v[4:5], v[102:103], v[194:195]
	v_mul_f64 v[6:7], v[102:103], v[192:193]
	s_waitcnt lgkmcnt(1)
	v_mul_f64 v[12:13], v[90:91], v[202:203]
	v_mul_f64 v[14:15], v[90:91], v[200:201]
	;; [unrolled: 3-line block ×3, first 2 shown]
	s_barrier
	buffer_gl0_inv
	v_mul_f64 v[0:1], v[98:99], v[210:211]
	v_mul_f64 v[2:3], v[98:99], v[208:209]
	;; [unrolled: 1-line block ×6, first 2 shown]
	v_fma_f64 v[4:5], v[100:101], v[192:193], v[4:5]
	v_fma_f64 v[6:7], v[100:101], v[194:195], -v[6:7]
	v_fma_f64 v[12:13], v[88:89], v[200:201], v[12:13]
	v_fma_f64 v[14:15], v[88:89], v[202:203], -v[14:15]
	;; [unrolled: 2-line block ×5, first 2 shown]
	v_add_f64 v[88:89], v[176:177], -v[4:5]
	v_fma_f64 v[4:5], v[84:85], v[164:165], v[20:21]
	v_add_f64 v[90:91], v[178:179], -v[6:7]
	v_fma_f64 v[6:7], v[84:85], v[166:167], -v[22:23]
	v_add_f64 v[96:97], v[188:189], -v[12:13]
	v_add_f64 v[98:99], v[190:191], -v[14:15]
	;; [unrolled: 1-line block ×8, first 2 shown]
	v_fma_f64 v[164:165], v[176:177], 2.0, -v[88:89]
	v_add_f64 v[84:85], v[172:173], -v[4:5]
	buffer_load_dword v4, off, s[40:43], 0 offset:204 ; 4-byte Folded Reload
	v_fma_f64 v[166:167], v[178:179], 2.0, -v[90:91]
	v_fma_f64 v[176:177], v[188:189], 2.0, -v[96:97]
	;; [unrolled: 1-line block ×3, first 2 shown]
	v_add_f64 v[86:87], v[174:175], -v[6:7]
	v_fma_f64 v[104:105], v[168:169], 2.0, -v[0:1]
	v_fma_f64 v[106:107], v[170:171], 2.0, -v[2:3]
	;; [unrolled: 1-line block ×6, first 2 shown]
	s_waitcnt vmcnt(0)
	ds_write_b128 v4, v[0:3] offset:176
	ds_write_b128 v4, v[104:107]
	buffer_load_dword v0, off, s[40:43], 0 offset:200 ; 4-byte Folded Reload
	s_waitcnt vmcnt(0)
	ds_write_b128 v0, v[164:167]
	ds_write_b128 v0, v[88:91] offset:176
	buffer_load_dword v0, off, s[40:43], 0 offset:196 ; 4-byte Folded Reload
	s_waitcnt vmcnt(0)
	ds_write_b128 v0, v[168:171]
	ds_write_b128 v0, v[92:95] offset:176
	;; [unrolled: 4-line block ×4, first 2 shown]
	s_and_saveexec_b32 s1, vcc_lo
	s_cbranch_execz .LBB0_13
; %bb.12:
	buffer_load_dword v4, off, s[40:43], 0 offset:184 ; 4-byte Folded Reload
	v_fma_f64 v[2:3], v[174:175], 2.0, -v[86:87]
	v_fma_f64 v[0:1], v[172:173], 2.0, -v[84:85]
	v_mov_b32_e32 v5, 4
	s_waitcnt vmcnt(0)
	v_mad_u16 v4, v4, 22, v253
	v_lshlrev_b32_sdwa v4, v5, v4 dst_sel:DWORD dst_unused:UNUSED_PAD src0_sel:DWORD src1_sel:WORD_0
	ds_write_b128 v4, v[0:3]
	ds_write_b128 v4, v[84:87] offset:176
.LBB0_13:
	s_or_b32 exec_lo, exec_lo, s1
	s_waitcnt lgkmcnt(0)
	s_barrier
	buffer_gl0_inv
	ds_read_b128 v[88:91], v250 offset:2464
	ds_read_b128 v[92:95], v250 offset:4928
	;; [unrolled: 1-line block ×3, first 2 shown]
	ds_read_b128 v[96:99], v250
	ds_read_b128 v[100:103], v250 offset:7392
	ds_read_b128 v[104:107], v250 offset:22176
	s_mov_b32 s24, 0x8eee2c13
	s_mov_b32 s14, 0x43842ef
	;; [unrolled: 1-line block ×14, first 2 shown]
	s_waitcnt lgkmcnt(5)
	v_mul_f64 v[6:7], v[66:67], v[88:89]
	v_mul_f64 v[4:5], v[66:67], v[90:91]
	s_waitcnt lgkmcnt(3)
	v_mul_f64 v[12:13], v[82:83], v[0:1]
	v_mul_f64 v[14:15], v[82:83], v[2:3]
	;; [unrolled: 1-line block ×4, first 2 shown]
	s_waitcnt lgkmcnt(0)
	v_mul_f64 v[16:17], v[78:79], v[106:107]
	v_mul_f64 v[18:19], v[78:79], v[104:105]
	s_mov_b32 s31, 0xbfe4f49e
	s_mov_b32 s35, 0xbfeeb42a
	;; [unrolled: 1-line block ×10, first 2 shown]
	v_fma_f64 v[6:7], v[64:65], v[90:91], -v[6:7]
	v_fma_f64 v[4:5], v[64:65], v[88:89], v[4:5]
	v_fma_f64 v[12:13], v[80:81], v[2:3], -v[12:13]
	ds_read_b128 v[62:65], v250 offset:19712
	v_fma_f64 v[14:15], v[80:81], v[0:1], v[14:15]
	ds_read_b128 v[0:3], v250 offset:17248
	ds_read_b128 v[78:81], v250 offset:9856
	v_mul_f64 v[20:21], v[50:51], v[102:103]
	v_mul_f64 v[22:23], v[50:51], v[100:101]
	v_fma_f64 v[16:17], v[76:77], v[104:105], v[16:17]
	v_fma_f64 v[18:19], v[76:77], v[106:107], -v[18:19]
	v_fma_f64 v[8:9], v[60:61], v[92:93], v[8:9]
	v_fma_f64 v[10:11], v[60:61], v[94:95], -v[10:11]
	s_waitcnt lgkmcnt(2)
	v_mul_f64 v[24:25], v[74:75], v[64:65]
	v_add_f64 v[36:37], v[6:7], -v[12:13]
	s_waitcnt lgkmcnt(1)
	v_mul_f64 v[32:33], v[70:71], v[2:3]
	s_waitcnt lgkmcnt(0)
	v_mul_f64 v[28:29], v[46:47], v[80:81]
	v_mul_f64 v[30:31], v[46:47], v[78:79]
	;; [unrolled: 1-line block ×4, first 2 shown]
	ds_read_b128 v[74:77], v250 offset:12320
	v_fma_f64 v[20:21], v[48:49], v[100:101], v[20:21]
	v_fma_f64 v[22:23], v[48:49], v[102:103], -v[22:23]
	ds_read_b128 v[48:51], v250 offset:14784
	v_add_f64 v[70:71], v[4:5], -v[14:15]
	v_add_f64 v[94:95], v[10:11], -v[18:19]
	;; [unrolled: 1-line block ×3, first 2 shown]
	s_waitcnt lgkmcnt(0)
	s_barrier
	buffer_gl0_inv
	v_fma_f64 v[24:25], v[72:73], v[62:63], v[24:25]
	v_mul_f64 v[46:47], v[36:37], s[28:29]
	v_fma_f64 v[32:33], v[68:69], v[0:1], v[32:33]
	v_fma_f64 v[28:29], v[44:45], v[78:79], v[28:29]
	v_fma_f64 v[30:31], v[44:45], v[80:81], -v[30:31]
	v_mul_f64 v[38:39], v[58:59], v[76:77]
	v_mul_f64 v[40:41], v[58:59], v[74:75]
	v_add_f64 v[0:1], v[6:7], v[12:13]
	v_mul_f64 v[42:43], v[54:55], v[50:51]
	v_mul_f64 v[44:45], v[54:55], v[48:49]
	v_fma_f64 v[34:35], v[68:69], v[2:3], -v[34:35]
	v_add_f64 v[2:3], v[4:5], v[14:15]
	v_mul_f64 v[54:55], v[36:37], s[24:25]
	v_mul_f64 v[58:59], v[36:37], s[14:15]
	;; [unrolled: 1-line block ×4, first 2 shown]
	v_fma_f64 v[26:27], v[72:73], v[64:65], -v[26:27]
	v_add_f64 v[4:5], v[96:97], v[4:5]
	v_add_f64 v[6:7], v[98:99], v[6:7]
	v_mul_f64 v[184:185], v[94:95], s[18:19]
	v_mul_f64 v[198:199], v[94:95], s[36:37]
	v_add_f64 v[106:107], v[20:21], v[24:25]
	v_add_f64 v[112:113], v[20:21], -v[24:25]
	v_add_f64 v[118:119], v[28:29], v[32:33]
	v_add_f64 v[168:169], v[28:29], -v[32:33]
	v_fma_f64 v[38:39], v[56:57], v[74:75], v[38:39]
	v_fma_f64 v[40:41], v[56:57], v[76:77], -v[40:41]
	v_fma_f64 v[42:43], v[52:53], v[48:49], v[42:43]
	v_fma_f64 v[44:45], v[52:53], v[50:51], -v[44:45]
	v_mul_f64 v[48:49], v[0:1], s[6:7]
	v_mul_f64 v[50:51], v[0:1], s[16:17]
	;; [unrolled: 1-line block ×3, first 2 shown]
	v_fma_f64 v[56:57], v[2:3], s[6:7], v[46:47]
	v_fma_f64 v[46:47], v[2:3], s[6:7], -v[46:47]
	v_fma_f64 v[62:63], v[2:3], s[16:17], v[54:55]
	v_fma_f64 v[54:55], v[2:3], s[16:17], -v[54:55]
	;; [unrolled: 2-line block ×5, first 2 shown]
	v_mul_f64 v[36:37], v[0:1], s[30:31]
	v_mul_f64 v[0:1], v[0:1], s[34:35]
	v_add_f64 v[104:105], v[22:23], -v[26:27]
	v_add_f64 v[110:111], v[22:23], v[26:27]
	v_add_f64 v[116:117], v[30:31], -v[34:35]
	v_add_f64 v[166:167], v[30:31], v[34:35]
	v_add_f64 v[4:5], v[4:5], v[8:9]
	;; [unrolled: 1-line block ×3, first 2 shown]
	v_add_f64 v[172:173], v[40:41], -v[44:45]
	v_fma_f64 v[72:73], v[70:71], s[2:3], v[48:49]
	v_fma_f64 v[48:49], v[70:71], s[28:29], v[48:49]
	;; [unrolled: 1-line block ×6, first 2 shown]
	v_add_f64 v[56:57], v[96:97], v[56:57]
	v_add_f64 v[46:47], v[96:97], v[46:47]
	;; [unrolled: 1-line block ×7, first 2 shown]
	v_fma_f64 v[78:79], v[70:71], s[38:39], v[36:37]
	v_fma_f64 v[36:37], v[70:71], s[18:19], v[36:37]
	v_fma_f64 v[80:81], v[70:71], s[36:37], v[0:1]
	v_fma_f64 v[0:1], v[70:71], s[26:27], v[0:1]
	v_add_f64 v[88:89], v[96:97], v[68:69]
	v_add_f64 v[90:91], v[96:97], v[2:3]
	v_mul_f64 v[108:109], v[104:105], s[14:15]
	v_mul_f64 v[114:115], v[110:111], s[20:21]
	;; [unrolled: 1-line block ×3, first 2 shown]
	v_add_f64 v[70:71], v[98:99], v[72:73]
	v_add_f64 v[48:49], v[98:99], v[48:49]
	v_add_f64 v[72:73], v[98:99], v[74:75]
	v_add_f64 v[50:51], v[98:99], v[50:51]
	v_add_f64 v[74:75], v[98:99], v[76:77]
	v_add_f64 v[52:53], v[98:99], v[52:53]
	v_add_f64 v[76:77], v[96:97], v[66:67]
	v_add_f64 v[96:97], v[8:9], v[16:17]
	v_mul_f64 v[170:171], v[166:167], s[30:31]
	v_mul_f64 v[176:177], v[172:173], s[26:27]
	v_add_f64 v[178:179], v[40:41], v[44:45]
	v_add_f64 v[180:181], v[38:39], -v[42:43]
	v_mul_f64 v[188:189], v[110:111], s[34:35]
	v_add_f64 v[78:79], v[98:99], v[78:79]
	v_add_f64 v[36:37], v[98:99], v[36:37]
	;; [unrolled: 1-line block ×4, first 2 shown]
	v_mul_f64 v[98:99], v[94:95], s[24:25]
	v_mul_f64 v[190:191], v[116:117], s[22:23]
	v_fma_f64 v[60:61], v[106:107], s[20:21], v[108:109]
	v_mul_f64 v[192:193], v[166:167], s[20:21]
	v_mul_f64 v[194:195], v[172:173], s[2:3]
	v_add_f64 v[6:7], v[6:7], v[10:11]
	v_add_f64 v[4:5], v[4:5], v[20:21]
	v_mul_f64 v[202:203], v[110:111], s[16:17]
	v_mul_f64 v[204:205], v[116:117], s[28:29]
	;; [unrolled: 1-line block ×7, first 2 shown]
	v_fma_f64 v[0:1], v[96:97], s[16:17], v[98:99]
	v_add_f64 v[6:7], v[6:7], v[22:23]
	v_add_f64 v[4:5], v[4:5], v[28:29]
	v_mul_f64 v[28:29], v[104:105], s[18:19]
	v_add_f64 v[0:1], v[0:1], v[56:57]
	v_add_f64 v[56:57], v[10:11], v[18:19]
	;; [unrolled: 1-line block ×4, first 2 shown]
	v_fma_f64 v[30:31], v[106:107], s[30:31], v[28:29]
	v_fma_f64 v[38:39], v[96:97], s[34:35], -v[198:199]
	v_fma_f64 v[28:29], v[106:107], s[30:31], -v[28:29]
	v_add_f64 v[0:1], v[60:61], v[0:1]
	v_mul_f64 v[102:103], v[56:57], s[16:17]
	v_fma_f64 v[60:61], v[112:113], s[22:23], v[114:115]
	v_mul_f64 v[186:187], v[56:57], s[30:31]
	v_mul_f64 v[200:201], v[56:57], s[34:35]
	v_add_f64 v[6:7], v[6:7], v[40:41]
	v_add_f64 v[4:5], v[4:5], v[42:43]
	v_mul_f64 v[8:9], v[56:57], s[20:21]
	v_add_f64 v[38:39], v[38:39], v[58:59]
	v_mul_f64 v[58:59], v[166:167], s[16:17]
	v_fma_f64 v[2:3], v[100:101], s[12:13], v[102:103]
	v_fma_f64 v[40:41], v[100:101], s[24:25], v[102:103]
	;; [unrolled: 1-line block ×3, first 2 shown]
	v_add_f64 v[6:7], v[6:7], v[44:45]
	v_add_f64 v[4:5], v[4:5], v[32:33]
	v_fma_f64 v[10:11], v[100:101], s[14:15], v[8:9]
	v_fma_f64 v[44:45], v[100:101], s[36:37], v[200:201]
	;; [unrolled: 1-line block ×3, first 2 shown]
	v_add_f64 v[2:3], v[2:3], v[70:71]
	v_add_f64 v[40:41], v[40:41], v[48:49]
	;; [unrolled: 1-line block ×3, first 2 shown]
	v_fma_f64 v[50:51], v[112:113], s[14:15], v[114:115]
	v_add_f64 v[6:7], v[6:7], v[34:35]
	v_add_f64 v[4:5], v[4:5], v[24:25]
	;; [unrolled: 1-line block ×3, first 2 shown]
	v_mul_f64 v[24:25], v[56:57], s[6:7]
	v_fma_f64 v[34:35], v[96:97], s[30:31], -v[184:185]
	v_add_f64 v[44:45], v[44:45], v[52:53]
	v_add_f64 v[8:9], v[8:9], v[36:37]
	v_fma_f64 v[36:37], v[106:107], s[20:21], -v[108:109]
	v_fma_f64 v[52:53], v[112:113], s[36:37], v[188:189]
	v_mul_f64 v[56:57], v[116:117], s[12:13]
	v_add_f64 v[2:3], v[60:61], v[2:3]
	v_fma_f64 v[60:61], v[118:119], s[30:31], v[164:165]
	v_add_f64 v[6:7], v[6:7], v[26:27]
	v_add_f64 v[4:5], v[4:5], v[16:17]
	v_fma_f64 v[26:27], v[100:101], s[28:29], v[24:25]
	v_fma_f64 v[24:25], v[100:101], s[2:3], v[24:25]
	v_add_f64 v[34:35], v[34:35], v[54:55]
	v_fma_f64 v[54:55], v[112:113], s[12:13], v[202:203]
	v_add_f64 v[0:1], v[60:61], v[0:1]
	;; [unrolled: 2-line block ×3, first 2 shown]
	v_add_f64 v[26:27], v[26:27], v[80:81]
	v_add_f64 v[24:25], v[24:25], v[92:93]
	v_add_f64 v[2:3], v[60:61], v[2:3]
	v_fma_f64 v[60:61], v[174:175], s[34:35], v[176:177]
	v_add_f64 v[70:71], v[6:7], v[12:13]
	v_mul_f64 v[12:13], v[104:105], s[28:29]
	v_add_f64 v[0:1], v[60:61], v[0:1]
	v_fma_f64 v[60:61], v[180:181], s[36:37], v[182:183]
	v_add_f64 v[2:3], v[60:61], v[2:3]
	v_fma_f64 v[60:61], v[96:97], s[30:31], v[184:185]
	;; [unrolled: 2-line block ×3, first 2 shown]
	v_add_f64 v[62:63], v[62:63], v[72:73]
	v_mul_f64 v[72:73], v[104:105], s[36:37]
	v_fma_f64 v[66:67], v[106:107], s[34:35], v[72:73]
	v_add_f64 v[60:61], v[66:67], v[60:61]
	v_fma_f64 v[66:67], v[112:113], s[26:27], v[188:189]
	v_add_f64 v[62:63], v[66:67], v[62:63]
	;; [unrolled: 2-line block ×8, first 2 shown]
	v_mul_f64 v[74:75], v[104:105], s[12:13]
	v_fma_f64 v[68:69], v[106:107], s[16:17], v[74:75]
	v_fma_f64 v[48:49], v[106:107], s[16:17], -v[74:75]
	v_add_f64 v[64:65], v[68:69], v[64:65]
	v_fma_f64 v[68:69], v[112:113], s[24:25], v[202:203]
	v_add_f64 v[38:39], v[48:49], v[38:39]
	v_fma_f64 v[48:49], v[168:169], s[28:29], v[206:207]
	;; [unrolled: 2-line block ×6, first 2 shown]
	v_add_f64 v[66:67], v[68:69], v[66:67]
	v_add_f64 v[68:69], v[4:5], v[14:15]
	v_mul_f64 v[4:5], v[94:95], s[22:23]
	v_fma_f64 v[14:15], v[106:107], s[6:7], v[12:13]
	v_fma_f64 v[12:13], v[106:107], s[6:7], -v[12:13]
	v_fma_f64 v[6:7], v[96:97], s[20:21], v[4:5]
	v_fma_f64 v[4:5], v[96:97], s[20:21], -v[4:5]
	v_add_f64 v[6:7], v[6:7], v[76:77]
	v_add_f64 v[4:5], v[4:5], v[82:83]
	v_fma_f64 v[76:77], v[118:119], s[16:17], v[56:57]
	v_add_f64 v[6:7], v[14:15], v[6:7]
	v_mul_f64 v[14:15], v[110:111], s[6:7]
	v_add_f64 v[4:5], v[12:13], v[4:5]
	v_fma_f64 v[16:17], v[112:113], s[2:3], v[14:15]
	v_fma_f64 v[14:15], v[112:113], s[28:29], v[14:15]
	v_add_f64 v[10:11], v[16:17], v[10:11]
	v_mul_f64 v[16:17], v[116:117], s[26:27]
	v_add_f64 v[8:9], v[14:15], v[8:9]
	v_fma_f64 v[18:19], v[118:119], s[34:35], v[16:17]
	v_fma_f64 v[16:17], v[118:119], s[34:35], -v[16:17]
	v_add_f64 v[6:7], v[18:19], v[6:7]
	v_mul_f64 v[18:19], v[166:167], s[34:35]
	v_add_f64 v[4:5], v[16:17], v[4:5]
	v_mul_f64 v[16:17], v[178:179], s[16:17]
	v_fma_f64 v[20:21], v[168:169], s[36:37], v[18:19]
	v_fma_f64 v[18:19], v[168:169], s[26:27], v[18:19]
	v_add_f64 v[10:11], v[20:21], v[10:11]
	v_mul_f64 v[20:21], v[94:95], s[2:3]
	v_add_f64 v[8:9], v[18:19], v[8:9]
	v_fma_f64 v[22:23], v[96:97], s[6:7], v[20:21]
	v_fma_f64 v[20:21], v[96:97], s[6:7], -v[20:21]
	v_add_f64 v[22:23], v[22:23], v[88:89]
	v_add_f64 v[20:21], v[20:21], v[90:91]
	v_fma_f64 v[88:89], v[180:181], s[26:27], v[182:183]
	v_add_f64 v[22:23], v[30:31], v[22:23]
	v_mul_f64 v[30:31], v[110:111], s[30:31]
	v_add_f64 v[12:13], v[28:29], v[20:21]
	v_fma_f64 v[28:29], v[118:119], s[6:7], -v[204:205]
	v_fma_f64 v[20:21], v[118:119], s[30:31], -v[164:165]
	v_add_f64 v[22:23], v[76:77], v[22:23]
	v_fma_f64 v[32:33], v[112:113], s[38:39], v[30:31]
	v_fma_f64 v[30:31], v[112:113], s[18:19], v[30:31]
	v_add_f64 v[28:29], v[28:29], v[38:39]
	v_mul_f64 v[38:39], v[172:173], s[12:13]
	v_add_f64 v[26:27], v[32:33], v[26:27]
	v_fma_f64 v[32:33], v[96:97], s[16:17], -v[98:99]
	v_add_f64 v[14:15], v[30:31], v[24:25]
	v_fma_f64 v[24:25], v[118:119], s[20:21], -v[190:191]
	v_fma_f64 v[30:31], v[118:119], s[16:17], -v[56:57]
	v_fma_f64 v[18:19], v[174:175], s[16:17], v[38:39]
	v_fma_f64 v[38:39], v[174:175], s[16:17], -v[38:39]
	v_add_f64 v[32:33], v[32:33], v[46:47]
	v_fma_f64 v[46:47], v[106:107], s[34:35], -v[72:73]
	v_fma_f64 v[72:73], v[168:169], s[24:25], v[58:59]
	v_add_f64 v[12:13], v[30:31], v[12:13]
	v_fma_f64 v[30:31], v[180:181], s[24:25], v[16:17]
	v_fma_f64 v[16:17], v[180:181], s[12:13], v[16:17]
	v_add_f64 v[32:33], v[36:37], v[32:33]
	v_add_f64 v[36:37], v[50:51], v[40:41]
	;; [unrolled: 1-line block ×5, first 2 shown]
	v_fma_f64 v[44:45], v[168:169], s[18:19], v[170:171]
	v_fma_f64 v[46:47], v[168:169], s[22:23], v[192:193]
	;; [unrolled: 1-line block ×3, first 2 shown]
	v_add_f64 v[26:27], v[72:73], v[26:27]
	v_fma_f64 v[54:55], v[180:181], s[18:19], v[210:211]
	v_fma_f64 v[58:59], v[180:181], s[2:3], v[196:197]
	v_add_f64 v[72:73], v[18:19], v[6:7]
	v_add_f64 v[74:75], v[30:31], v[10:11]
	;; [unrolled: 1-line block ×7, first 2 shown]
	v_mul_f64 v[40:41], v[172:173], s[14:15]
	v_mul_f64 v[42:43], v[178:179], s[20:21]
	v_add_f64 v[14:15], v[50:51], v[14:15]
	v_fma_f64 v[46:47], v[174:175], s[34:35], -v[176:177]
	v_fma_f64 v[48:49], v[174:175], s[6:7], -v[194:195]
	;; [unrolled: 1-line block ×3, first 2 shown]
	v_fma_f64 v[44:45], v[174:175], s[20:21], v[40:41]
	v_fma_f64 v[52:53], v[180:181], s[22:23], v[42:43]
	v_fma_f64 v[40:41], v[174:175], s[20:21], -v[40:41]
	v_fma_f64 v[42:43], v[180:181], s[14:15], v[42:43]
	v_add_f64 v[56:57], v[46:47], v[20:21]
	v_add_f64 v[46:47], v[16:17], v[8:9]
	;; [unrolled: 1-line block ×12, first 2 shown]
	ds_write_b128 v252, v[68:71]
	ds_write_b128 v252, v[0:3] offset:352
	ds_write_b128 v252, v[60:63] offset:704
	;; [unrolled: 1-line block ×10, first 2 shown]
	s_waitcnt lgkmcnt(0)
	s_barrier
	buffer_gl0_inv
	ds_read_b128 v[60:63], v250
	ds_read_b128 v[80:83], v250 offset:3872
	ds_read_b128 v[76:79], v250 offset:7744
	;; [unrolled: 1-line block ×6, first 2 shown]
	s_and_saveexec_b32 s1, s0
	s_cbranch_execz .LBB0_15
; %bb.14:
	ds_read_b128 v[44:47], v250 offset:2464
	ds_read_b128 v[48:51], v250 offset:6336
	;; [unrolled: 1-line block ×7, first 2 shown]
.LBB0_15:
	s_or_b32 exec_lo, exec_lo, s1
	s_waitcnt lgkmcnt(5)
	v_mul_f64 v[0:1], v[134:135], v[82:83]
	v_mul_f64 v[2:3], v[134:135], v[80:81]
	s_waitcnt lgkmcnt(4)
	v_mul_f64 v[4:5], v[146:147], v[78:79]
	v_mul_f64 v[6:7], v[146:147], v[76:77]
	;; [unrolled: 3-line block ×3, first 2 shown]
	v_mul_f64 v[12:13], v[150:151], v[74:75]
	v_mul_f64 v[14:15], v[150:151], v[72:73]
	;; [unrolled: 1-line block ×6, first 2 shown]
	s_mov_b32 s12, 0x37e14327
	s_mov_b32 s16, 0xe976ee23
	;; [unrolled: 1-line block ×10, first 2 shown]
	v_fma_f64 v[0:1], v[132:133], v[80:81], v[0:1]
	v_fma_f64 v[2:3], v[132:133], v[82:83], -v[2:3]
	v_fma_f64 v[4:5], v[144:145], v[76:77], v[4:5]
	v_fma_f64 v[6:7], v[144:145], v[78:79], -v[6:7]
	;; [unrolled: 2-line block ×6, first 2 shown]
	s_mov_b32 s15, 0xbff2aaaa
	s_mov_b32 s18, 0x5476071b
	;; [unrolled: 1-line block ×10, first 2 shown]
	v_add_f64 v[24:25], v[0:1], v[8:9]
	v_add_f64 v[26:27], v[2:3], v[10:11]
	;; [unrolled: 1-line block ×4, first 2 shown]
	v_add_f64 v[4:5], v[4:5], -v[12:13]
	v_add_f64 v[6:7], v[6:7], -v[14:15]
	v_add_f64 v[12:13], v[16:17], v[20:21]
	v_add_f64 v[14:15], v[18:19], v[22:23]
	v_add_f64 v[16:17], v[20:21], -v[16:17]
	v_add_f64 v[18:19], v[22:23], -v[18:19]
	;; [unrolled: 1-line block ×4, first 2 shown]
	v_add_f64 v[0:1], v[28:29], v[24:25]
	v_add_f64 v[2:3], v[30:31], v[26:27]
	v_add_f64 v[20:21], v[24:25], -v[12:13]
	v_add_f64 v[22:23], v[26:27], -v[14:15]
	;; [unrolled: 1-line block ×6, first 2 shown]
	v_add_f64 v[4:5], v[16:17], v[4:5]
	v_add_f64 v[6:7], v[18:19], v[6:7]
	v_add_f64 v[16:17], v[8:9], -v[16:17]
	v_add_f64 v[18:19], v[10:11], -v[18:19]
	v_add_f64 v[24:25], v[28:29], -v[24:25]
	v_add_f64 v[26:27], v[30:31], -v[26:27]
	v_add_f64 v[40:41], v[12:13], v[0:1]
	v_add_f64 v[42:43], v[14:15], v[2:3]
	v_add_f64 v[12:13], v[12:13], -v[28:29]
	v_add_f64 v[14:15], v[14:15], -v[30:31]
	v_mul_f64 v[20:21], v[20:21], s[12:13]
	v_mul_f64 v[22:23], v[22:23], s[12:13]
	;; [unrolled: 1-line block ×6, first 2 shown]
	v_add_f64 v[4:5], v[4:5], v[8:9]
	v_add_f64 v[6:7], v[6:7], v[10:11]
	;; [unrolled: 1-line block ×4, first 2 shown]
	v_mul_f64 v[28:29], v[12:13], s[6:7]
	v_mul_f64 v[30:31], v[14:15], s[6:7]
	v_fma_f64 v[8:9], v[12:13], s[6:7], v[20:21]
	v_fma_f64 v[10:11], v[14:15], s[6:7], v[22:23]
	;; [unrolled: 1-line block ×4, first 2 shown]
	v_fma_f64 v[32:33], v[36:37], s[2:3], -v[32:33]
	v_fma_f64 v[34:35], v[38:39], s[2:3], -v[34:35]
	;; [unrolled: 1-line block ×6, first 2 shown]
	v_fma_f64 v[36:37], v[40:41], s[14:15], v[0:1]
	v_fma_f64 v[38:39], v[42:43], s[14:15], v[2:3]
	v_fma_f64 v[24:25], v[24:25], s[18:19], -v[28:29]
	v_fma_f64 v[26:27], v[26:27], s[18:19], -v[30:31]
	v_fma_f64 v[12:13], v[4:5], s[26:27], v[12:13]
	v_fma_f64 v[14:15], v[6:7], s[26:27], v[14:15]
	;; [unrolled: 1-line block ×6, first 2 shown]
	v_add_f64 v[8:9], v[8:9], v[36:37]
	v_add_f64 v[10:11], v[10:11], v[38:39]
	v_add_f64 v[16:17], v[20:21], v[36:37]
	v_add_f64 v[18:19], v[22:23], v[38:39]
	v_add_f64 v[20:21], v[24:25], v[36:37]
	v_add_f64 v[22:23], v[26:27], v[38:39]
	v_add_f64 v[60:61], v[14:15], v[8:9]
	v_add_f64 v[62:63], v[10:11], -v[12:13]
	v_add_f64 v[64:65], v[6:7], v[16:17]
	v_add_f64 v[66:67], v[18:19], -v[4:5]
	v_add_f64 v[68:69], v[20:21], -v[30:31]
	v_add_f64 v[70:71], v[28:29], v[22:23]
	v_add_f64 v[72:73], v[30:31], v[20:21]
	v_add_f64 v[74:75], v[22:23], -v[28:29]
	v_add_f64 v[76:77], v[16:17], -v[6:7]
	v_add_f64 v[78:79], v[4:5], v[18:19]
	v_add_f64 v[80:81], v[8:9], -v[14:15]
	v_add_f64 v[82:83], v[12:13], v[10:11]
	ds_write_b128 v250, v[0:3]
	ds_write_b128 v250, v[60:63] offset:3872
	ds_write_b128 v250, v[64:67] offset:7744
	;; [unrolled: 1-line block ×6, first 2 shown]
	s_and_saveexec_b32 s1, s0
	s_cbranch_execz .LBB0_17
; %bb.16:
	s_clause 0x3
	buffer_load_dword v24, off, s[40:43], 0 offset:208
	buffer_load_dword v25, off, s[40:43], 0 offset:212
	buffer_load_dword v26, off, s[40:43], 0 offset:216
	buffer_load_dword v27, off, s[40:43], 0 offset:220
	v_mul_f64 v[0:1], v[130:131], v[160:161]
	v_mul_f64 v[4:5], v[126:127], v[156:157]
	;; [unrolled: 1-line block ×6, first 2 shown]
	v_fma_f64 v[0:1], v[128:129], v[162:163], -v[0:1]
	v_fma_f64 v[4:5], v[124:125], v[158:159], -v[4:5]
	;; [unrolled: 1-line block ×3, first 2 shown]
	v_fma_f64 v[10:11], v[128:129], v[160:161], v[10:11]
	v_fma_f64 v[12:13], v[120:121], v[52:53], v[12:13]
	;; [unrolled: 1-line block ×3, first 2 shown]
	s_waitcnt vmcnt(0)
	v_mul_f64 v[2:3], v[26:27], v[48:49]
	v_mul_f64 v[8:9], v[26:27], v[50:51]
	s_clause 0x7
	buffer_load_dword v26, off, s[40:43], 0 offset:224
	buffer_load_dword v27, off, s[40:43], 0 offset:228
	;; [unrolled: 1-line block ×8, first 2 shown]
	v_fma_f64 v[2:3], v[24:25], v[50:51], -v[2:3]
	v_fma_f64 v[8:9], v[24:25], v[48:49], v[8:9]
	v_add_f64 v[24:25], v[2:3], v[0:1]
	s_waitcnt vmcnt(4)
	v_mul_f64 v[16:17], v[28:29], v[86:87]
	s_waitcnt vmcnt(0)
	v_mul_f64 v[18:19], v[32:33], v[58:59]
	v_mul_f64 v[20:21], v[32:33], v[56:57]
	;; [unrolled: 1-line block ×3, first 2 shown]
	v_add_f64 v[28:29], v[8:9], v[10:11]
	v_add_f64 v[8:9], v[8:9], -v[10:11]
	v_fma_f64 v[16:17], v[26:27], v[84:85], v[16:17]
	v_fma_f64 v[18:19], v[30:31], v[56:57], v[18:19]
	v_fma_f64 v[20:21], v[30:31], v[58:59], -v[20:21]
	v_fma_f64 v[22:23], v[26:27], v[86:87], -v[22:23]
	v_add_f64 v[26:27], v[6:7], v[4:5]
	v_add_f64 v[30:31], v[12:13], v[14:15]
	v_add_f64 v[12:13], v[12:13], -v[14:15]
	v_add_f64 v[4:5], v[6:7], -v[4:5]
	;; [unrolled: 1-line block ×4, first 2 shown]
	v_add_f64 v[16:17], v[18:19], v[16:17]
	v_add_f64 v[14:15], v[20:21], v[22:23]
	;; [unrolled: 1-line block ×3, first 2 shown]
	v_add_f64 v[18:19], v[22:23], -v[20:21]
	v_add_f64 v[0:1], v[30:31], v[28:29]
	v_add_f64 v[34:35], v[12:13], -v[8:9]
	v_add_f64 v[38:39], v[4:5], -v[6:7]
	;; [unrolled: 1-line block ×5, first 2 shown]
	v_add_f64 v[10:11], v[14:15], v[10:11]
	v_add_f64 v[14:15], v[14:15], -v[26:27]
	v_add_f64 v[36:37], v[18:19], -v[4:5]
	v_add_f64 v[40:41], v[16:17], v[0:1]
	v_add_f64 v[16:17], v[16:17], -v[30:31]
	v_add_f64 v[42:43], v[8:9], -v[32:33]
	v_add_f64 v[12:13], v[32:33], v[12:13]
	v_add_f64 v[4:5], v[18:19], v[4:5]
	v_add_f64 v[18:19], v[6:7], -v[18:19]
	v_add_f64 v[24:25], v[26:27], -v[24:25]
	v_mul_f64 v[48:49], v[34:35], s[2:3]
	v_add_f64 v[28:29], v[30:31], -v[28:29]
	v_mul_f64 v[32:33], v[2:3], s[16:17]
	v_mul_f64 v[22:23], v[22:23], s[12:13]
	v_mul_f64 v[20:21], v[20:21], s[12:13]
	v_add_f64 v[2:3], v[46:47], v[10:11]
	v_mul_f64 v[26:27], v[14:15], s[6:7]
	v_mul_f64 v[36:37], v[36:37], s[16:17]
	v_add_f64 v[0:1], v[44:45], v[40:41]
	v_mul_f64 v[46:47], v[38:39], s[2:3]
	v_mul_f64 v[30:31], v[16:17], s[6:7]
	v_add_f64 v[8:9], v[12:13], v[8:9]
	v_add_f64 v[4:5], v[4:5], v[6:7]
	v_fma_f64 v[6:7], v[42:43], s[22:23], v[32:33]
	v_fma_f64 v[32:33], v[34:35], s[2:3], -v[32:33]
	v_fma_f64 v[12:13], v[14:15], s[6:7], v[20:21]
	v_fma_f64 v[14:15], v[16:17], s[6:7], v[22:23]
	;; [unrolled: 1-line block ×3, first 2 shown]
	v_fma_f64 v[20:21], v[24:25], s[20:21], -v[20:21]
	v_fma_f64 v[24:25], v[24:25], s[18:19], -v[26:27]
	v_fma_f64 v[26:27], v[18:19], s[22:23], v[36:37]
	v_fma_f64 v[34:35], v[38:39], s[2:3], -v[36:37]
	v_fma_f64 v[36:37], v[40:41], s[14:15], v[0:1]
	v_fma_f64 v[16:17], v[42:43], s[24:25], -v[48:49]
	v_fma_f64 v[18:19], v[18:19], s[24:25], -v[46:47]
	;; [unrolled: 1-line block ×4, first 2 shown]
	v_fma_f64 v[6:7], v[8:9], s[26:27], v[6:7]
	v_add_f64 v[12:13], v[12:13], v[10:11]
	v_add_f64 v[20:21], v[20:21], v[10:11]
	v_add_f64 v[10:11], v[24:25], v[10:11]
	v_fma_f64 v[24:25], v[4:5], s[26:27], v[26:27]
	v_add_f64 v[14:15], v[14:15], v[36:37]
	v_fma_f64 v[16:17], v[8:9], s[26:27], v[16:17]
	v_fma_f64 v[18:19], v[4:5], s[26:27], v[18:19]
	v_add_f64 v[22:23], v[22:23], v[36:37]
	v_fma_f64 v[8:9], v[8:9], s[26:27], v[32:33]
	v_fma_f64 v[4:5], v[4:5], s[26:27], v[34:35]
	v_add_f64 v[26:27], v[28:29], v[36:37]
	v_add_f64 v[66:67], v[12:13], -v[6:7]
	v_add_f64 v[46:47], v[6:7], v[12:13]
	v_add_f64 v[64:65], v[24:25], v[14:15]
	v_add_f64 v[62:63], v[20:21], -v[16:17]
	v_add_f64 v[50:51], v[16:17], v[20:21]
	v_add_f64 v[60:61], v[18:19], v[22:23]
	;; [unrolled: 1-line block ×3, first 2 shown]
	v_add_f64 v[54:55], v[10:11], -v[8:9]
	v_add_f64 v[56:57], v[26:27], -v[4:5]
	v_add_f64 v[52:53], v[4:5], v[26:27]
	v_add_f64 v[48:49], v[22:23], -v[18:19]
	v_add_f64 v[44:45], v[14:15], -v[24:25]
	ds_write_b128 v250, v[0:3] offset:2464
	ds_write_b128 v250, v[64:67] offset:6336
	;; [unrolled: 1-line block ×7, first 2 shown]
.LBB0_17:
	s_or_b32 exec_lo, exec_lo, s1
	s_waitcnt lgkmcnt(0)
	s_barrier
	buffer_gl0_inv
	ds_read_b128 v[0:3], v250
	ds_read_b128 v[44:47], v250 offset:2464
	ds_read_b128 v[48:51], v250 offset:4928
	s_clause 0x1
	buffer_load_dword v4, off, s[40:43], 0
	buffer_load_dword v5, off, s[40:43], 0 offset:4
	ds_read_b128 v[52:55], v250 offset:7392
	s_clause 0x3
	buffer_load_dword v28, off, s[40:43], 0 offset:8
	buffer_load_dword v29, off, s[40:43], 0 offset:12
	;; [unrolled: 1-line block ×4, first 2 shown]
	ds_read_b128 v[56:59], v250 offset:9856
	ds_read_b128 v[60:63], v250 offset:12320
	v_mad_u64_u32 v[6:7], null, s8, v249, 0
	s_mov_b32 s0, 0xe9078e5b
	s_mov_b32 s1, 0x3f4357f3
	s_mul_i32 s3, s9, 0x9a0
	s_mul_hi_u32 s6, s8, 0x9a0
	s_mul_i32 s2, s8, 0x9a0
	s_add_i32 s6, s6, s3
	s_waitcnt vmcnt(5)
	v_mov_b32_e32 v20, v4
	s_waitcnt vmcnt(0) lgkmcnt(5)
	v_mul_f64 v[8:9], v[30:31], v[2:3]
	v_mul_f64 v[10:11], v[30:31], v[0:1]
	s_clause 0x3
	buffer_load_dword v30, off, s[40:43], 0 offset:120
	buffer_load_dword v31, off, s[40:43], 0 offset:124
	;; [unrolled: 1-line block ×4, first 2 shown]
	v_mad_u64_u32 v[4:5], null, s10, v20, 0
	v_mad_u64_u32 v[20:21], null, s11, v20, v[5:6]
	v_mov_b32_e32 v5, v20
	v_mad_u64_u32 v[21:22], null, s9, v249, v[7:8]
	v_fma_f64 v[0:1], v[28:29], v[0:1], v[8:9]
	v_fma_f64 v[2:3], v[28:29], v[2:3], -v[10:11]
	v_lshlrev_b64 v[4:5], 4, v[4:5]
	v_mov_b32_e32 v7, v21
	v_lshlrev_b64 v[6:7], 4, v[6:7]
	v_mul_f64 v[0:1], v[0:1], s[0:1]
	v_mul_f64 v[2:3], v[2:3], s[0:1]
	s_waitcnt vmcnt(0) lgkmcnt(4)
	v_mul_f64 v[12:13], v[32:33], v[46:47]
	v_mul_f64 v[14:15], v[32:33], v[44:45]
	s_clause 0x3
	buffer_load_dword v32, off, s[40:43], 0 offset:104
	buffer_load_dword v33, off, s[40:43], 0 offset:108
	;; [unrolled: 1-line block ×4, first 2 shown]
	ds_read_b128 v[64:67], v250 offset:14784
	ds_read_b128 v[68:71], v250 offset:17248
	;; [unrolled: 1-line block ×5, first 2 shown]
	s_clause 0x3
	buffer_load_dword v96, off, s[40:43], 0 offset:72
	buffer_load_dword v97, off, s[40:43], 0 offset:76
	;; [unrolled: 1-line block ×4, first 2 shown]
	v_fma_f64 v[12:13], v[30:31], v[44:45], v[12:13]
	v_add_co_u32 v44, vcc_lo, s4, v4
	v_add_co_ci_u32_e32 v45, vcc_lo, s5, v5, vcc_lo
	v_fma_f64 v[28:29], v[30:31], v[46:47], -v[14:15]
	v_add_co_u32 v6, vcc_lo, v44, v6
	v_add_co_ci_u32_e32 v7, vcc_lo, v45, v7, vcc_lo
	v_mul_f64 v[14:15], v[12:13], s[0:1]
	s_waitcnt vmcnt(4) lgkmcnt(8)
	v_mul_f64 v[18:19], v[34:35], v[48:49]
	v_mul_f64 v[16:17], v[34:35], v[50:51]
	s_waitcnt vmcnt(0) lgkmcnt(7)
	v_mul_f64 v[22:23], v[98:99], v[54:55]
	v_mul_f64 v[24:25], v[98:99], v[52:53]
	s_clause 0xf
	buffer_load_dword v98, off, s[40:43], 0 offset:88
	buffer_load_dword v99, off, s[40:43], 0 offset:92
	;; [unrolled: 1-line block ×16, first 2 shown]
	v_fma_f64 v[18:19], v[32:33], v[50:51], -v[18:19]
	v_fma_f64 v[30:31], v[32:33], v[48:49], v[16:17]
	v_fma_f64 v[4:5], v[96:97], v[52:53], v[22:23]
	v_fma_f64 v[42:43], v[96:97], v[54:55], -v[24:25]
	v_mul_f64 v[16:17], v[28:29], s[0:1]
	v_mul_f64 v[24:25], v[18:19], s[0:1]
	;; [unrolled: 1-line block ×3, first 2 shown]
	v_add_co_u32 v18, vcc_lo, v6, s2
	v_add_co_ci_u32_e32 v19, vcc_lo, s6, v7, vcc_lo
	v_add_co_u32 v28, vcc_lo, v18, s2
	v_add_co_ci_u32_e32 v29, vcc_lo, s6, v19, vcc_lo
	s_waitcnt vmcnt(12) lgkmcnt(6)
	v_mul_f64 v[26:27], v[100:101], v[58:59]
	v_mul_f64 v[8:9], v[100:101], v[56:57]
	s_clause 0x3
	buffer_load_dword v100, off, s[40:43], 0 offset:136
	buffer_load_dword v101, off, s[40:43], 0 offset:140
	;; [unrolled: 1-line block ×4, first 2 shown]
	global_store_dwordx4 v[6:7], v[0:3], off
	s_clause 0x3
	buffer_load_dword v50, off, s[40:43], 0 offset:152
	buffer_load_dword v51, off, s[40:43], 0 offset:156
	;; [unrolled: 1-line block ×4, first 2 shown]
	s_waitcnt vmcnt(16) lgkmcnt(5)
	v_mul_f64 v[10:11], v[94:95], v[62:63]
	v_mul_f64 v[32:33], v[94:95], v[60:61]
	s_waitcnt vmcnt(12) lgkmcnt(4)
	v_mul_f64 v[34:35], v[90:91], v[66:67]
	v_mul_f64 v[36:37], v[90:91], v[64:65]
	;; [unrolled: 3-line block ×3, first 2 shown]
	v_mul_f64 v[0:1], v[4:5], s[0:1]
	v_mul_f64 v[2:3], v[42:43], s[0:1]
	v_add_co_u32 v42, vcc_lo, v28, s2
	v_add_co_ci_u32_e32 v43, vcc_lo, s6, v29, vcc_lo
	v_fma_f64 v[26:27], v[98:99], v[56:57], v[26:27]
	v_fma_f64 v[8:9], v[98:99], v[58:59], -v[8:9]
	v_fma_f64 v[4:5], v[92:93], v[60:61], v[10:11]
	v_fma_f64 v[20:21], v[84:85], v[68:69], v[20:21]
	v_mul_f64 v[6:7], v[26:27], s[0:1]
	v_mul_f64 v[8:9], v[8:9], s[0:1]
	;; [unrolled: 1-line block ×3, first 2 shown]
	s_waitcnt vmcnt(4) lgkmcnt(2)
	v_mul_f64 v[40:41], v[102:103], v[74:75]
	v_mul_f64 v[12:13], v[102:103], v[72:73]
	s_waitcnt vmcnt(0) lgkmcnt(1)
	v_mul_f64 v[30:31], v[52:53], v[78:79]
	v_mul_f64 v[44:45], v[52:53], v[76:77]
	s_clause 0x3
	buffer_load_dword v52, off, s[40:43], 0 offset:168
	buffer_load_dword v53, off, s[40:43], 0 offset:172
	;; [unrolled: 1-line block ×4, first 2 shown]
	global_store_dwordx4 v[18:19], v[14:17], off
	global_store_dwordx4 v[28:29], v[22:25], off
	v_fma_f64 v[14:15], v[92:93], v[62:63], -v[32:33]
	v_fma_f64 v[16:17], v[88:89], v[64:65], v[34:35]
	v_fma_f64 v[18:19], v[88:89], v[66:67], -v[36:37]
	v_fma_f64 v[22:23], v[84:85], v[70:71], -v[38:39]
	v_add_co_u32 v36, vcc_lo, v42, s2
	v_add_co_ci_u32_e32 v37, vcc_lo, s6, v43, vcc_lo
	global_store_dwordx4 v[42:43], v[0:3], off
	v_add_co_u32 v4, vcc_lo, v36, s2
	v_add_co_ci_u32_e32 v5, vcc_lo, s6, v37, vcc_lo
	global_store_dwordx4 v[36:37], v[6:9], off
	v_add_co_u32 v38, vcc_lo, v4, s2
	v_fma_f64 v[24:25], v[100:101], v[72:73], v[40:41]
	v_fma_f64 v[26:27], v[100:101], v[74:75], -v[12:13]
	v_fma_f64 v[28:29], v[50:51], v[76:77], v[30:31]
	v_fma_f64 v[30:31], v[50:51], v[78:79], -v[44:45]
	v_add_co_ci_u32_e32 v39, vcc_lo, s6, v5, vcc_lo
	v_mul_f64 v[12:13], v[14:15], s[0:1]
	v_mul_f64 v[14:15], v[16:17], s[0:1]
	;; [unrolled: 1-line block ×9, first 2 shown]
	global_store_dwordx4 v[4:5], v[10:13], off
	s_waitcnt vmcnt(0) lgkmcnt(0)
	v_mul_f64 v[46:47], v[54:55], v[82:83]
	v_mul_f64 v[48:49], v[54:55], v[80:81]
	v_fma_f64 v[32:33], v[52:53], v[80:81], v[46:47]
	v_fma_f64 v[34:35], v[52:53], v[82:83], -v[48:49]
	v_mul_f64 v[30:31], v[32:33], s[0:1]
	v_mul_f64 v[32:33], v[34:35], s[0:1]
	v_add_co_u32 v34, vcc_lo, v38, s2
	v_add_co_ci_u32_e32 v35, vcc_lo, s6, v39, vcc_lo
	v_add_co_u32 v0, vcc_lo, v34, s2
	v_add_co_ci_u32_e32 v1, vcc_lo, s6, v35, vcc_lo
	;; [unrolled: 2-line block ×4, first 2 shown]
	global_store_dwordx4 v[38:39], v[14:17], off
	global_store_dwordx4 v[34:35], v[18:21], off
	;; [unrolled: 1-line block ×5, first 2 shown]
.LBB0_18:
	s_endpgm
	.section	.rodata,"a",@progbits
	.p2align	6, 0x0
	.amdhsa_kernel bluestein_single_back_len1694_dim1_dp_op_CI_CI
		.amdhsa_group_segment_fixed_size 27104
		.amdhsa_private_segment_fixed_size 260
		.amdhsa_kernarg_size 104
		.amdhsa_user_sgpr_count 6
		.amdhsa_user_sgpr_private_segment_buffer 1
		.amdhsa_user_sgpr_dispatch_ptr 0
		.amdhsa_user_sgpr_queue_ptr 0
		.amdhsa_user_sgpr_kernarg_segment_ptr 1
		.amdhsa_user_sgpr_dispatch_id 0
		.amdhsa_user_sgpr_flat_scratch_init 0
		.amdhsa_user_sgpr_private_segment_size 0
		.amdhsa_wavefront_size32 1
		.amdhsa_uses_dynamic_stack 0
		.amdhsa_system_sgpr_private_segment_wavefront_offset 1
		.amdhsa_system_sgpr_workgroup_id_x 1
		.amdhsa_system_sgpr_workgroup_id_y 0
		.amdhsa_system_sgpr_workgroup_id_z 0
		.amdhsa_system_sgpr_workgroup_info 0
		.amdhsa_system_vgpr_workitem_id 0
		.amdhsa_next_free_vgpr 256
		.amdhsa_next_free_sgpr 44
		.amdhsa_reserve_vcc 1
		.amdhsa_reserve_flat_scratch 0
		.amdhsa_float_round_mode_32 0
		.amdhsa_float_round_mode_16_64 0
		.amdhsa_float_denorm_mode_32 3
		.amdhsa_float_denorm_mode_16_64 3
		.amdhsa_dx10_clamp 1
		.amdhsa_ieee_mode 1
		.amdhsa_fp16_overflow 0
		.amdhsa_workgroup_processor_mode 1
		.amdhsa_memory_ordered 1
		.amdhsa_forward_progress 0
		.amdhsa_shared_vgpr_count 0
		.amdhsa_exception_fp_ieee_invalid_op 0
		.amdhsa_exception_fp_denorm_src 0
		.amdhsa_exception_fp_ieee_div_zero 0
		.amdhsa_exception_fp_ieee_overflow 0
		.amdhsa_exception_fp_ieee_underflow 0
		.amdhsa_exception_fp_ieee_inexact 0
		.amdhsa_exception_int_div_zero 0
	.end_amdhsa_kernel
	.text
.Lfunc_end0:
	.size	bluestein_single_back_len1694_dim1_dp_op_CI_CI, .Lfunc_end0-bluestein_single_back_len1694_dim1_dp_op_CI_CI
                                        ; -- End function
	.section	.AMDGPU.csdata,"",@progbits
; Kernel info:
; codeLenInByte = 22392
; NumSgprs: 46
; NumVgprs: 256
; ScratchSize: 260
; MemoryBound: 0
; FloatMode: 240
; IeeeMode: 1
; LDSByteSize: 27104 bytes/workgroup (compile time only)
; SGPRBlocks: 5
; VGPRBlocks: 31
; NumSGPRsForWavesPerEU: 46
; NumVGPRsForWavesPerEU: 256
; Occupancy: 4
; WaveLimiterHint : 1
; COMPUTE_PGM_RSRC2:SCRATCH_EN: 1
; COMPUTE_PGM_RSRC2:USER_SGPR: 6
; COMPUTE_PGM_RSRC2:TRAP_HANDLER: 0
; COMPUTE_PGM_RSRC2:TGID_X_EN: 1
; COMPUTE_PGM_RSRC2:TGID_Y_EN: 0
; COMPUTE_PGM_RSRC2:TGID_Z_EN: 0
; COMPUTE_PGM_RSRC2:TIDIG_COMP_CNT: 0
	.text
	.p2alignl 6, 3214868480
	.fill 48, 4, 3214868480
	.type	__hip_cuid_6659f02cbe8e56ee,@object ; @__hip_cuid_6659f02cbe8e56ee
	.section	.bss,"aw",@nobits
	.globl	__hip_cuid_6659f02cbe8e56ee
__hip_cuid_6659f02cbe8e56ee:
	.byte	0                               ; 0x0
	.size	__hip_cuid_6659f02cbe8e56ee, 1

	.ident	"AMD clang version 19.0.0git (https://github.com/RadeonOpenCompute/llvm-project roc-6.4.0 25133 c7fe45cf4b819c5991fe208aaa96edf142730f1d)"
	.section	".note.GNU-stack","",@progbits
	.addrsig
	.addrsig_sym __hip_cuid_6659f02cbe8e56ee
	.amdgpu_metadata
---
amdhsa.kernels:
  - .args:
      - .actual_access:  read_only
        .address_space:  global
        .offset:         0
        .size:           8
        .value_kind:     global_buffer
      - .actual_access:  read_only
        .address_space:  global
        .offset:         8
        .size:           8
        .value_kind:     global_buffer
      - .actual_access:  read_only
        .address_space:  global
        .offset:         16
        .size:           8
        .value_kind:     global_buffer
      - .actual_access:  read_only
        .address_space:  global
        .offset:         24
        .size:           8
        .value_kind:     global_buffer
      - .actual_access:  read_only
        .address_space:  global
        .offset:         32
        .size:           8
        .value_kind:     global_buffer
      - .offset:         40
        .size:           8
        .value_kind:     by_value
      - .address_space:  global
        .offset:         48
        .size:           8
        .value_kind:     global_buffer
      - .address_space:  global
        .offset:         56
        .size:           8
        .value_kind:     global_buffer
      - .address_space:  global
        .offset:         64
        .size:           8
        .value_kind:     global_buffer
      - .address_space:  global
        .offset:         72
        .size:           8
        .value_kind:     global_buffer
      - .offset:         80
        .size:           4
        .value_kind:     by_value
      - .address_space:  global
        .offset:         88
        .size:           8
        .value_kind:     global_buffer
      - .address_space:  global
        .offset:         96
        .size:           8
        .value_kind:     global_buffer
    .group_segment_fixed_size: 27104
    .kernarg_segment_align: 8
    .kernarg_segment_size: 104
    .language:       OpenCL C
    .language_version:
      - 2
      - 0
    .max_flat_workgroup_size: 154
    .name:           bluestein_single_back_len1694_dim1_dp_op_CI_CI
    .private_segment_fixed_size: 260
    .sgpr_count:     46
    .sgpr_spill_count: 0
    .symbol:         bluestein_single_back_len1694_dim1_dp_op_CI_CI.kd
    .uniform_work_group_size: 1
    .uses_dynamic_stack: false
    .vgpr_count:     256
    .vgpr_spill_count: 64
    .wavefront_size: 32
    .workgroup_processor_mode: 1
amdhsa.target:   amdgcn-amd-amdhsa--gfx1030
amdhsa.version:
  - 1
  - 2
...

	.end_amdgpu_metadata
